;; amdgpu-corpus repo=ROCm/rocFFT kind=compiled arch=gfx950 opt=O3
	.text
	.amdgcn_target "amdgcn-amd-amdhsa--gfx950"
	.amdhsa_code_object_version 6
	.protected	bluestein_single_fwd_len242_dim1_dp_op_CI_CI ; -- Begin function bluestein_single_fwd_len242_dim1_dp_op_CI_CI
	.globl	bluestein_single_fwd_len242_dim1_dp_op_CI_CI
	.p2align	8
	.type	bluestein_single_fwd_len242_dim1_dp_op_CI_CI,@function
bluestein_single_fwd_len242_dim1_dp_op_CI_CI: ; @bluestein_single_fwd_len242_dim1_dp_op_CI_CI
; %bb.0:
	s_load_dwordx4 s[16:19], s[0:1], 0x28
	v_mul_u32_u24_e32 v1, 0xba3, v0
	v_lshrrev_b32_e32 v2, 16, v1
	v_mad_u64_u32 v[158:159], s[2:3], s2, 5, v[2:3]
	v_mov_b32_e32 v157, 0
	v_mov_b32_e32 v159, v157
	s_waitcnt lgkmcnt(0)
	v_cmp_gt_u64_e32 vcc, s[16:17], v[158:159]
	s_and_saveexec_b64 s[2:3], vcc
	s_cbranch_execz .LBB0_10
; %bb.1:
	s_load_dwordx4 s[4:7], s[0:1], 0x18
	s_load_dwordx4 s[8:11], s[0:1], 0x0
	v_mul_lo_u16_e32 v1, 22, v2
	v_sub_u16_e32 v156, v0, v1
	v_mov_b32_e32 v4, s18
	s_waitcnt lgkmcnt(0)
	s_load_dwordx4 s[12:15], s[4:5], 0x0
	v_mov_b32_e32 v5, s19
	v_mov_b32_e32 v26, 0x160
	v_lshlrev_b32_e32 v124, 4, v156
	global_load_dwordx4 v[40:43], v124, s[8:9]
	s_waitcnt lgkmcnt(0)
	v_mad_u64_u32 v[0:1], s[2:3], s14, v158, 0
	v_mov_b32_e32 v2, v1
	v_mad_u64_u32 v[2:3], s[2:3], s15, v158, v[2:3]
	v_mov_b32_e32 v1, v2
	;; [unrolled: 2-line block ×4, first 2 shown]
	v_lshl_add_u64 v[0:1], v[0:1], 4, v[4:5]
	v_lshl_add_u64 v[0:1], v[2:3], 4, v[0:1]
	global_load_dwordx4 v[44:47], v[0:1], off
	v_mad_u64_u32 v[0:1], s[2:3], s12, v26, v[0:1]
	s_mul_i32 s2, s13, 0x160
	s_nop 0
	v_add_u32_e32 v1, s2, v1
	global_load_dwordx4 v[32:35], v124, s[8:9] offset:352
	global_load_dwordx4 v[48:51], v[0:1], off
	v_mad_u64_u32 v[0:1], s[4:5], s12, v26, v[0:1]
	v_add_u32_e32 v1, s2, v1
	global_load_dwordx4 v[52:55], v[0:1], off
	global_load_dwordx4 v[8:11], v124, s[8:9] offset:704
	v_mad_u64_u32 v[0:1], s[4:5], s12, v26, v[0:1]
	v_add_u32_e32 v1, s2, v1
	global_load_dwordx4 v[36:39], v124, s[8:9] offset:1056
	global_load_dwordx4 v[56:59], v[0:1], off
	v_mad_u64_u32 v[0:1], s[4:5], s12, v26, v[0:1]
	v_add_u32_e32 v1, s2, v1
	global_load_dwordx4 v[60:63], v[0:1], off
	global_load_dwordx4 v[12:15], v124, s[8:9] offset:1408
	v_mad_u64_u32 v[0:1], s[4:5], s12, v26, v[0:1]
	v_add_u32_e32 v1, s2, v1
	global_load_dwordx4 v[64:67], v[0:1], off
	global_load_dwordx4 v[28:31], v124, s[8:9] offset:1760
	;; [unrolled: 4-line block ×6, first 2 shown]
	v_mad_u64_u32 v[88:89], s[4:5], s12, v26, v[24:25]
	v_add_u32_e32 v89, s2, v89
	global_load_dwordx4 v[24:27], v124, s[8:9] offset:3520
	global_load_dwordx4 v[84:87], v[88:89], off
	s_mov_b32 s2, 0xcccccccd
	v_mul_hi_u32 v88, v158, s2
	v_lshrrev_b32_e32 v88, 2, v88
	v_lshl_add_u32 v88, v88, 2, v88
	v_sub_u32_e32 v88, v158, v88
	v_mul_u32_u24_e32 v88, 0xf2, v88
	v_lshlrev_b32_e32 v160, 4, v88
	v_add_u32_e32 v159, v124, v160
	s_load_dwordx4 s[4:7], s[6:7], 0x0
	s_mov_b32 s24, 0xf8bb580b
	s_mov_b32 s18, 0x43842ef
	;; [unrolled: 1-line block ×26, first 2 shown]
	v_mov_b32_e32 v125, v157
	v_cmp_gt_u16_e32 vcc, 11, v156
	s_waitcnt vmcnt(20)
	v_mul_f64 v[88:89], v[46:47], v[42:43]
	v_mul_f64 v[90:91], v[44:45], v[42:43]
	v_fmac_f64_e32 v[88:89], v[44:45], v[40:41]
	v_fma_f64 v[90:91], v[46:47], v[40:41], -v[90:91]
	ds_write_b128 v159, v[88:91]
	s_waitcnt vmcnt(18)
	v_mul_f64 v[44:45], v[50:51], v[34:35]
	v_mul_f64 v[46:47], v[48:49], v[34:35]
	v_fmac_f64_e32 v[44:45], v[48:49], v[32:33]
	v_fma_f64 v[46:47], v[50:51], v[32:33], -v[46:47]
	ds_write_b128 v159, v[44:47] offset:352
	s_waitcnt vmcnt(16)
	v_mul_f64 v[44:45], v[54:55], v[10:11]
	v_mul_f64 v[46:47], v[52:53], v[10:11]
	v_fmac_f64_e32 v[44:45], v[52:53], v[8:9]
	v_fma_f64 v[46:47], v[54:55], v[8:9], -v[46:47]
	ds_write_b128 v159, v[44:47] offset:704
	;; [unrolled: 6-line block ×10, first 2 shown]
	s_waitcnt lgkmcnt(0)
	s_barrier
	ds_read_b128 v[64:67], v159
	ds_read_b128 v[72:75], v159 offset:352
	ds_read_b128 v[76:79], v159 offset:704
	;; [unrolled: 1-line block ×10, first 2 shown]
	s_waitcnt lgkmcnt(9)
	v_add_f64 v[44:45], v[64:65], v[72:73]
	v_add_f64 v[46:47], v[66:67], v[74:75]
	s_waitcnt lgkmcnt(8)
	v_add_f64 v[44:45], v[44:45], v[76:77]
	v_add_f64 v[46:47], v[46:47], v[78:79]
	;; [unrolled: 3-line block ×8, first 2 shown]
	s_waitcnt lgkmcnt(1)
	v_add_f64 v[44:45], v[44:45], v[84:85]
	s_waitcnt lgkmcnt(0)
	v_add_f64 v[92:93], v[72:73], v[88:89]
	v_add_f64 v[94:95], v[74:75], v[90:91]
	v_add_f64 v[72:73], v[72:73], -v[88:89]
	v_add_f64 v[74:75], v[74:75], -v[90:91]
	v_add_f64 v[46:47], v[46:47], v[86:87]
	v_add_f64 v[44:45], v[44:45], v[88:89]
	v_mul_f64 v[88:89], v[74:75], s[24:25]
	v_mul_f64 v[96:97], v[72:73], s[24:25]
	;; [unrolled: 1-line block ×5, first 2 shown]
	v_add_f64 v[110:111], v[76:77], v[84:85]
	v_add_f64 v[76:77], v[76:77], -v[84:85]
	v_add_f64 v[84:85], v[68:69], v[80:81]
	v_add_f64 v[68:69], v[68:69], -v[80:81]
	v_mul_f64 v[80:81], v[74:75], s[22:23]
	v_mul_f64 v[74:75], v[74:75], s[30:31]
	;; [unrolled: 1-line block ×5, first 2 shown]
	v_add_f64 v[46:47], v[46:47], v[90:91]
	v_fma_f64 v[90:91], v[92:93], s[20:21], -v[88:89]
	v_fma_f64 v[98:99], s[20:21], v[94:95], v[96:97]
	v_fmac_f64_e32 v[88:89], s[20:21], v[92:93]
	v_fma_f64 v[96:97], v[94:95], s[20:21], -v[96:97]
	v_fma_f64 v[102:103], v[92:93], s[12:13], -v[100:101]
	v_fmac_f64_e32 v[100:101], s[12:13], v[92:93]
	v_fma_f64 v[108:109], v[92:93], s[14:15], -v[106:107]
	v_fmac_f64_e32 v[106:107], s[14:15], v[92:93]
	v_add_f64 v[112:113], v[78:79], v[86:87]
	v_add_f64 v[78:79], v[78:79], -v[86:87]
	v_add_f64 v[86:87], v[70:71], v[82:83]
	v_add_f64 v[70:71], v[70:71], -v[82:83]
	v_fma_f64 v[82:83], v[92:93], s[26:27], -v[80:81]
	v_fmac_f64_e32 v[80:81], s[26:27], v[92:93]
	v_fma_f64 v[114:115], v[92:93], s[28:29], -v[74:75]
	v_fmac_f64_e32 v[74:75], s[28:29], v[92:93]
	v_fma_f64 v[92:93], s[12:13], v[94:95], v[104:105]
	v_fma_f64 v[104:105], v[94:95], s[12:13], -v[104:105]
	v_fma_f64 v[118:119], s[14:15], v[94:95], v[116:117]
	v_fma_f64 v[116:117], v[94:95], s[14:15], -v[116:117]
	;; [unrolled: 2-line block ×4, first 2 shown]
	v_add_f64 v[94:95], v[66:67], v[98:99]
	v_add_f64 v[96:97], v[66:67], v[96:97]
	;; [unrolled: 1-line block ×12, first 2 shown]
	v_mul_f64 v[72:73], v[78:79], s[16:17]
	v_add_f64 v[90:91], v[64:65], v[90:91]
	v_add_f64 v[88:89], v[64:65], v[88:89]
	v_add_f64 v[100:101], v[64:65], v[100:101]
	v_add_f64 v[106:107], v[64:65], v[106:107]
	v_add_f64 v[82:83], v[64:65], v[82:83]
	v_add_f64 v[80:81], v[64:65], v[80:81]
	v_add_f64 v[114:115], v[64:65], v[114:115]
	v_add_f64 v[64:65], v[64:65], v[74:75]
	v_fma_f64 v[74:75], v[110:111], s[12:13], -v[72:73]
	v_add_f64 v[74:75], v[74:75], v[90:91]
	v_mul_f64 v[90:91], v[76:77], s[16:17]
	v_fmac_f64_e32 v[72:73], s[12:13], v[110:111]
	v_fma_f64 v[126:127], s[12:13], v[112:113], v[90:91]
	v_add_f64 v[72:73], v[72:73], v[88:89]
	v_fma_f64 v[88:89], v[112:113], s[12:13], -v[90:91]
	v_mul_f64 v[90:91], v[78:79], s[22:23]
	v_add_f64 v[88:89], v[88:89], v[96:97]
	v_fma_f64 v[96:97], v[110:111], s[26:27], -v[90:91]
	v_add_f64 v[96:97], v[96:97], v[98:99]
	v_mul_f64 v[98:99], v[76:77], s[22:23]
	v_fmac_f64_e32 v[90:91], s[26:27], v[110:111]
	v_add_f64 v[94:95], v[126:127], v[94:95]
	v_fma_f64 v[126:127], s[26:27], v[112:113], v[98:99]
	v_add_f64 v[90:91], v[90:91], v[100:101]
	v_fma_f64 v[98:99], v[112:113], s[26:27], -v[98:99]
	v_mul_f64 v[100:101], v[78:79], s[2:3]
	v_add_f64 v[98:99], v[98:99], v[102:103]
	v_fma_f64 v[102:103], v[110:111], s[28:29], -v[100:101]
	v_add_f64 v[102:103], v[102:103], v[104:105]
	v_mul_f64 v[104:105], v[76:77], s[2:3]
	v_fmac_f64_e32 v[100:101], s[28:29], v[110:111]
	v_add_f64 v[92:93], v[126:127], v[92:93]
	v_fma_f64 v[126:127], s[28:29], v[112:113], v[104:105]
	v_add_f64 v[100:101], v[100:101], v[106:107]
	v_fma_f64 v[104:105], v[112:113], s[28:29], -v[104:105]
	v_mul_f64 v[106:107], v[78:79], s[36:37]
	v_add_f64 v[104:105], v[104:105], v[116:117]
	v_fma_f64 v[116:117], v[110:111], s[14:15], -v[106:107]
	v_add_f64 v[82:83], v[116:117], v[82:83]
	v_mul_f64 v[116:117], v[76:77], s[36:37]
	v_fmac_f64_e32 v[106:107], s[14:15], v[110:111]
	v_mul_f64 v[78:79], v[78:79], s[34:35]
	v_add_f64 v[108:109], v[126:127], v[108:109]
	v_fma_f64 v[126:127], s[14:15], v[112:113], v[116:117]
	v_add_f64 v[80:81], v[106:107], v[80:81]
	v_fma_f64 v[106:107], v[112:113], s[14:15], -v[116:117]
	v_fma_f64 v[116:117], v[110:111], s[20:21], -v[78:79]
	v_mul_f64 v[76:77], v[76:77], s[34:35]
	v_add_f64 v[114:115], v[116:117], v[114:115]
	v_fma_f64 v[116:117], s[20:21], v[112:113], v[76:77]
	v_fma_f64 v[76:77], v[112:113], s[20:21], -v[76:77]
	v_fmac_f64_e32 v[78:79], s[20:21], v[110:111]
	v_add_f64 v[66:67], v[76:77], v[66:67]
	v_mul_f64 v[76:77], v[70:71], s[18:19]
	v_add_f64 v[64:65], v[78:79], v[64:65]
	v_fma_f64 v[78:79], v[84:85], s[14:15], -v[76:77]
	v_add_f64 v[74:75], v[78:79], v[74:75]
	v_mul_f64 v[78:79], v[68:69], s[18:19]
	v_fmac_f64_e32 v[76:77], s[14:15], v[84:85]
	v_fma_f64 v[110:111], s[14:15], v[86:87], v[78:79]
	v_add_f64 v[72:73], v[76:77], v[72:73]
	v_fma_f64 v[76:77], v[86:87], s[14:15], -v[78:79]
	v_mul_f64 v[78:79], v[70:71], s[2:3]
	v_add_f64 v[76:77], v[76:77], v[88:89]
	v_fma_f64 v[88:89], v[84:85], s[28:29], -v[78:79]
	v_add_f64 v[88:89], v[88:89], v[96:97]
	v_mul_f64 v[96:97], v[68:69], s[2:3]
	v_fmac_f64_e32 v[78:79], s[28:29], v[84:85]
	s_mov_b32 s17, 0x3fed1bb4
	v_add_f64 v[94:95], v[110:111], v[94:95]
	v_fma_f64 v[110:111], s[28:29], v[86:87], v[96:97]
	v_add_f64 v[78:79], v[78:79], v[90:91]
	v_fma_f64 v[90:91], v[86:87], s[28:29], -v[96:97]
	v_mul_f64 v[96:97], v[70:71], s[16:17]
	v_add_f64 v[90:91], v[90:91], v[98:99]
	v_fma_f64 v[98:99], v[84:85], s[12:13], -v[96:97]
	v_add_f64 v[98:99], v[98:99], v[102:103]
	v_mul_f64 v[102:103], v[68:69], s[16:17]
	v_fmac_f64_e32 v[96:97], s[12:13], v[84:85]
	v_add_f64 v[92:93], v[110:111], v[92:93]
	v_fma_f64 v[110:111], s[12:13], v[86:87], v[102:103]
	v_add_f64 v[96:97], v[96:97], v[100:101]
	v_fma_f64 v[100:101], v[86:87], s[12:13], -v[102:103]
	v_mul_f64 v[102:103], v[70:71], s[24:25]
	v_add_f64 v[100:101], v[100:101], v[104:105]
	v_fma_f64 v[104:105], v[84:85], s[20:21], -v[102:103]
	v_add_f64 v[82:83], v[104:105], v[82:83]
	v_mul_f64 v[104:105], v[68:69], s[24:25]
	v_fmac_f64_e32 v[102:103], s[20:21], v[84:85]
	v_mul_f64 v[70:71], v[70:71], s[22:23]
	v_add_f64 v[106:107], v[106:107], v[120:121]
	v_add_f64 v[108:109], v[110:111], v[108:109]
	v_fma_f64 v[110:111], s[20:21], v[86:87], v[104:105]
	v_add_f64 v[80:81], v[102:103], v[80:81]
	v_fma_f64 v[102:103], v[86:87], s[20:21], -v[104:105]
	v_fma_f64 v[104:105], v[84:85], s[26:27], -v[70:71]
	v_mul_f64 v[68:69], v[68:69], s[22:23]
	v_fmac_f64_e32 v[70:71], s[26:27], v[84:85]
	v_add_f64 v[102:103], v[102:103], v[106:107]
	v_fma_f64 v[106:107], s[26:27], v[86:87], v[68:69]
	v_add_f64 v[64:65], v[70:71], v[64:65]
	v_fma_f64 v[68:69], v[86:87], s[26:27], -v[68:69]
	v_add_f64 v[70:71], v[58:59], v[62:63]
	v_add_f64 v[58:59], v[58:59], -v[62:63]
	v_add_f64 v[66:67], v[68:69], v[66:67]
	v_add_f64 v[68:69], v[56:57], v[60:61]
	v_add_f64 v[56:57], v[56:57], -v[60:61]
	v_mul_f64 v[60:61], v[58:59], s[22:23]
	v_fma_f64 v[62:63], v[68:69], s[26:27], -v[60:61]
	v_add_f64 v[62:63], v[62:63], v[74:75]
	v_mul_f64 v[74:75], v[56:57], s[22:23]
	v_fmac_f64_e32 v[60:61], s[26:27], v[68:69]
	v_add_f64 v[60:61], v[60:61], v[72:73]
	v_fma_f64 v[72:73], v[70:71], s[26:27], -v[74:75]
	v_fma_f64 v[84:85], s[26:27], v[70:71], v[74:75]
	v_add_f64 v[74:75], v[72:73], v[76:77]
	v_mul_f64 v[72:73], v[58:59], s[36:37]
	v_fma_f64 v[76:77], v[68:69], s[14:15], -v[72:73]
	v_mul_f64 v[86:87], v[56:57], s[36:37]
	v_fmac_f64_e32 v[72:73], s[14:15], v[68:69]
	v_add_f64 v[78:79], v[72:73], v[78:79]
	v_fma_f64 v[72:73], v[70:71], s[14:15], -v[86:87]
	v_add_f64 v[76:77], v[76:77], v[88:89]
	v_fma_f64 v[88:89], s[14:15], v[70:71], v[86:87]
	v_add_f64 v[86:87], v[72:73], v[90:91]
	v_mul_f64 v[72:73], v[58:59], s[24:25]
	v_add_f64 v[88:89], v[88:89], v[92:93]
	v_fma_f64 v[90:91], v[68:69], s[20:21], -v[72:73]
	v_mul_f64 v[92:93], v[56:57], s[24:25]
	v_fmac_f64_e32 v[72:73], s[20:21], v[68:69]
	v_add_f64 v[96:97], v[72:73], v[96:97]
	v_fma_f64 v[72:73], v[70:71], s[20:21], -v[92:93]
	v_add_f64 v[84:85], v[84:85], v[94:95]
	v_fma_f64 v[94:95], s[20:21], v[70:71], v[92:93]
	v_add_f64 v[92:93], v[72:73], v[100:101]
	v_mul_f64 v[72:73], v[58:59], s[30:31]
	v_add_f64 v[90:91], v[90:91], v[98:99]
	v_fma_f64 v[98:99], v[68:69], s[28:29], -v[72:73]
	v_add_f64 v[118:119], v[126:127], v[118:119]
	v_add_f64 v[116:117], v[116:117], v[122:123]
	;; [unrolled: 1-line block ×3, first 2 shown]
	v_mul_f64 v[98:99], v[56:57], s[30:31]
	v_fmac_f64_e32 v[72:73], s[28:29], v[68:69]
	v_add_f64 v[110:111], v[110:111], v[118:119]
	v_add_f64 v[106:107], v[106:107], v[116:117]
	v_fma_f64 v[100:101], s[28:29], v[70:71], v[98:99]
	v_add_f64 v[80:81], v[72:73], v[80:81]
	v_fma_f64 v[72:73], v[70:71], s[28:29], -v[98:99]
	v_mul_f64 v[58:59], v[58:59], s[16:17]
	v_add_f64 v[116:117], v[50:51], -v[54:55]
	v_add_f64 v[104:105], v[104:105], v[114:115]
	v_add_f64 v[100:101], v[100:101], v[110:111]
	;; [unrolled: 1-line block ×3, first 2 shown]
	v_fma_f64 v[72:73], v[68:69], s[12:13], -v[58:59]
	v_mul_f64 v[56:57], v[56:57], s[16:17]
	v_add_f64 v[110:111], v[48:49], v[52:53]
	v_add_f64 v[114:115], v[48:49], -v[52:53]
	v_mul_f64 v[52:53], v[116:117], s[30:31]
	v_add_f64 v[102:103], v[72:73], v[104:105]
	v_fma_f64 v[72:73], s[12:13], v[70:71], v[56:57]
	v_fma_f64 v[56:57], v[70:71], s[12:13], -v[56:57]
	v_add_f64 v[112:113], v[50:51], v[54:55]
	v_fma_f64 v[48:49], v[110:111], s[28:29], -v[52:53]
	v_mul_f64 v[54:55], v[114:115], s[30:31]
	v_fmac_f64_e32 v[52:53], s[28:29], v[110:111]
	v_add_f64 v[94:95], v[94:95], v[108:109]
	v_add_f64 v[104:105], v[72:73], v[106:107]
	v_fmac_f64_e32 v[58:59], s[12:13], v[68:69]
	v_add_f64 v[108:109], v[56:57], v[66:67]
	v_add_f64 v[72:73], v[52:53], v[60:61]
	v_fma_f64 v[52:53], v[112:113], s[28:29], -v[54:55]
	v_mul_f64 v[56:57], v[116:117], s[34:35]
	v_add_f64 v[106:107], v[58:59], v[64:65]
	v_add_f64 v[74:75], v[52:53], v[74:75]
	v_fma_f64 v[52:53], v[110:111], s[20:21], -v[56:57]
	v_mul_f64 v[58:59], v[114:115], s[34:35]
	v_fma_f64 v[50:51], s[28:29], v[112:113], v[54:55]
	v_add_f64 v[52:53], v[52:53], v[76:77]
	v_fma_f64 v[54:55], s[20:21], v[112:113], v[58:59]
	v_fmac_f64_e32 v[56:57], s[20:21], v[110:111]
	v_fma_f64 v[58:59], v[112:113], s[20:21], -v[58:59]
	v_mul_f64 v[76:77], v[116:117], s[16:17]
	v_add_f64 v[50:51], v[50:51], v[84:85]
	v_add_f64 v[56:57], v[56:57], v[78:79]
	;; [unrolled: 1-line block ×3, first 2 shown]
	v_mul_f64 v[64:65], v[116:117], s[22:23]
	v_mul_f64 v[66:67], v[114:115], s[22:23]
	v_fma_f64 v[68:69], v[110:111], s[12:13], -v[76:77]
	v_mul_f64 v[78:79], v[114:115], s[16:17]
	v_fmac_f64_e32 v[76:77], s[12:13], v[110:111]
	v_mul_f64 v[84:85], v[116:117], s[18:19]
	v_mul_f64 v[86:87], v[114:115], s[18:19]
	v_add_f64 v[48:49], v[48:49], v[62:63]
	v_add_f64 v[54:55], v[54:55], v[88:89]
	v_fma_f64 v[60:61], v[110:111], s[26:27], -v[64:65]
	v_fma_f64 v[62:63], s[26:27], v[112:113], v[66:67]
	v_fmac_f64_e32 v[64:65], s[26:27], v[110:111]
	v_fma_f64 v[66:67], v[112:113], s[26:27], -v[66:67]
	v_add_f64 v[68:69], v[68:69], v[82:83]
	v_fma_f64 v[70:71], s[12:13], v[112:113], v[78:79]
	v_add_f64 v[76:77], v[76:77], v[80:81]
	v_fma_f64 v[78:79], v[112:113], s[12:13], -v[78:79]
	v_fma_f64 v[80:81], v[110:111], s[14:15], -v[84:85]
	v_fma_f64 v[82:83], s[14:15], v[112:113], v[86:87]
	v_fmac_f64_e32 v[84:85], s[14:15], v[110:111]
	v_fma_f64 v[86:87], v[112:113], s[14:15], -v[86:87]
	v_mul_lo_u16_e32 v88, 11, v156
	v_add_f64 v[64:65], v[64:65], v[96:97]
	v_add_f64 v[66:67], v[66:67], v[92:93]
	;; [unrolled: 1-line block ×7, first 2 shown]
	v_lshl_add_u32 v136, v88, 4, v160
	v_add_f64 v[60:61], v[60:61], v[90:91]
	v_add_f64 v[62:63], v[62:63], v[94:95]
	;; [unrolled: 1-line block ×3, first 2 shown]
	s_barrier
	ds_write_b128 v136, v[44:47]
	ds_write_b128 v136, v[48:51] offset:16
	ds_write_b128 v136, v[52:55] offset:32
	;; [unrolled: 1-line block ×10, first 2 shown]
	s_waitcnt lgkmcnt(0)
	s_barrier
	ds_read_b128 v[104:107], v159
	ds_read_b128 v[84:87], v159 offset:352
	ds_read_b128 v[88:91], v159 offset:2288
	;; [unrolled: 1-line block ×9, first 2 shown]
	s_load_dwordx2 s[2:3], s[0:1], 0x38
                                        ; implicit-def: $vgpr108_vgpr109
	s_and_saveexec_b64 s[0:1], vcc
	s_cbranch_execz .LBB0_3
; %bb.2:
	ds_read_b128 v[72:75], v159 offset:1760
	ds_read_b128 v[108:111], v159 offset:3696
.LBB0_3:
	s_or_b64 exec, exec, s[0:1]
	v_add_u16_e32 v46, 22, v156
	s_movk_i32 s0, 0x75
	v_mul_lo_u16_sdwa v47, v46, s0 dst_sel:DWORD dst_unused:UNUSED_PAD src0_sel:BYTE_0 src1_sel:DWORD
	v_sub_u16_sdwa v48, v46, v47 dst_sel:DWORD dst_unused:UNUSED_PAD src0_sel:DWORD src1_sel:BYTE_1
	v_lshrrev_b16_e32 v48, 1, v48
	v_and_b32_e32 v48, 0x7f, v48
	v_add_u16_sdwa v47, v48, v47 dst_sel:DWORD dst_unused:UNUSED_PAD src0_sel:DWORD src1_sel:BYTE_1
	v_lshl_add_u64 v[44:45], v[156:157], 0, -11
	v_lshrrev_b16_e32 v119, 3, v47
	v_cndmask_b32_e64 v121, v45, 0, vcc
	v_cndmask_b32_e32 v120, v44, v156, vcc
	v_mul_lo_u16_e32 v47, 11, v119
	v_lshl_add_u64 v[44:45], v[120:121], 4, s[10:11]
	v_sub_u16_e32 v121, v46, v47
	v_mov_b32_e32 v46, 4
	v_lshlrev_b32_sdwa v47, v46, v121 dst_sel:DWORD dst_unused:UNUSED_PAD src0_sel:DWORD src1_sel:BYTE_0
	global_load_dwordx4 v[52:55], v[44:45], off
	global_load_dwordx4 v[48:51], v47, s[10:11]
	v_add_u16_e32 v44, 44, v156
	v_mul_lo_u16_sdwa v45, v44, s0 dst_sel:DWORD dst_unused:UNUSED_PAD src0_sel:BYTE_0 src1_sel:DWORD
	v_sub_u16_sdwa v47, v44, v45 dst_sel:DWORD dst_unused:UNUSED_PAD src0_sel:DWORD src1_sel:BYTE_1
	v_lshrrev_b16_e32 v47, 1, v47
	v_and_b32_e32 v47, 0x7f, v47
	v_add_u16_sdwa v45, v47, v45 dst_sel:DWORD dst_unused:UNUSED_PAD src0_sel:DWORD src1_sel:BYTE_1
	v_lshrrev_b16_e32 v137, 3, v45
	v_mul_lo_u16_e32 v45, 11, v137
	v_sub_u16_e32 v142, v44, v45
	v_add_u16_e32 v45, 0x42, v156
	v_mul_lo_u16_sdwa v47, v45, s0 dst_sel:DWORD dst_unused:UNUSED_PAD src0_sel:BYTE_0 src1_sel:DWORD
	v_sub_u16_sdwa v56, v45, v47 dst_sel:DWORD dst_unused:UNUSED_PAD src0_sel:DWORD src1_sel:BYTE_1
	v_lshrrev_b16_e32 v56, 1, v56
	v_and_b32_e32 v56, 0x7f, v56
	v_add_u16_sdwa v47, v56, v47 dst_sel:DWORD dst_unused:UNUSED_PAD src0_sel:DWORD src1_sel:BYTE_1
	v_lshrrev_b16_e32 v143, 3, v47
	v_mul_lo_u16_e32 v47, 11, v143
	v_lshlrev_b32_sdwa v44, v46, v142 dst_sel:DWORD dst_unused:UNUSED_PAD src0_sel:DWORD src1_sel:BYTE_0
	v_sub_u16_e32 v144, v45, v47
	v_lshlrev_b32_sdwa v45, v46, v144 dst_sel:DWORD dst_unused:UNUSED_PAD src0_sel:DWORD src1_sel:BYTE_0
	global_load_dwordx4 v[60:63], v44, s[10:11]
	global_load_dwordx4 v[56:59], v45, s[10:11]
	v_add_u16_e32 v44, 0x58, v156
	v_mul_lo_u16_sdwa v45, v44, s0 dst_sel:DWORD dst_unused:UNUSED_PAD src0_sel:BYTE_0 src1_sel:DWORD
	v_sub_u16_sdwa v47, v44, v45 dst_sel:DWORD dst_unused:UNUSED_PAD src0_sel:DWORD src1_sel:BYTE_1
	v_lshrrev_b16_e32 v47, 1, v47
	v_and_b32_e32 v47, 0x7f, v47
	v_add_u16_sdwa v45, v47, v45 dst_sel:DWORD dst_unused:UNUSED_PAD src0_sel:DWORD src1_sel:BYTE_1
	v_lshrrev_b16_e32 v145, 3, v45
	v_mul_lo_u16_e32 v45, 11, v145
	v_sub_u16_e32 v146, v44, v45
	v_add_u16_e32 v45, 0x6e, v156
	v_lshlrev_b32_sdwa v44, v46, v146 dst_sel:DWORD dst_unused:UNUSED_PAD src0_sel:DWORD src1_sel:BYTE_0
	v_mul_lo_u16_sdwa v46, v45, s0 dst_sel:DWORD dst_unused:UNUSED_PAD src0_sel:BYTE_0 src1_sel:DWORD
	global_load_dwordx4 v[68:71], v44, s[10:11]
	v_sub_u16_sdwa v44, v45, v46 dst_sel:DWORD dst_unused:UNUSED_PAD src0_sel:DWORD src1_sel:BYTE_1
	v_lshrrev_b16_e32 v44, 1, v44
	v_and_b32_e32 v44, 0x7f, v44
	v_add_u16_sdwa v44, v44, v46 dst_sel:DWORD dst_unused:UNUSED_PAD src0_sel:DWORD src1_sel:BYTE_1
	v_lshrrev_b16_e32 v44, 3, v44
	v_mul_lo_u16_e32 v44, 11, v44
	v_sub_u16_e32 v157, v45, v44
	v_and_b32_e32 v118, 0xff, v157
	v_lshlrev_b32_e32 v44, 4, v118
	global_load_dwordx4 v[44:47], v44, s[10:11]
	v_cmp_lt_u16_e64 s[0:1], 10, v156
	s_waitcnt lgkmcnt(0)
	s_barrier
	v_lshl_add_u64 v[116:117], s[8:9], 0, v[124:125]
	s_waitcnt vmcnt(5)
	v_mul_f64 v[122:123], v[114:115], v[54:55]
	v_mul_f64 v[126:127], v[112:113], v[54:55]
	v_fma_f64 v[112:113], v[112:113], v[52:53], -v[122:123]
	v_fmac_f64_e32 v[126:127], v[114:115], v[52:53]
	s_waitcnt vmcnt(4)
	v_mul_f64 v[122:123], v[90:91], v[50:51]
	v_add_f64 v[114:115], v[106:107], -v[126:127]
	v_mul_f64 v[126:127], v[88:89], v[50:51]
	v_fma_f64 v[88:89], v[88:89], v[48:49], -v[122:123]
	v_fmac_f64_e32 v[126:127], v[90:91], v[48:49]
	v_add_f64 v[112:113], v[104:105], -v[112:113]
	v_fma_f64 v[104:105], v[104:105], 2.0, -v[112:113]
	v_fma_f64 v[106:107], v[106:107], 2.0, -v[114:115]
	v_add_f64 v[88:89], v[84:85], -v[88:89]
	v_fma_f64 v[84:85], v[84:85], 2.0, -v[88:89]
	s_waitcnt vmcnt(3)
	v_mul_f64 v[128:129], v[94:95], v[62:63]
	s_waitcnt vmcnt(2)
	v_mul_f64 v[132:133], v[102:103], v[58:59]
	v_mul_f64 v[134:135], v[100:101], v[58:59]
	v_fma_f64 v[100:101], v[100:101], v[56:57], -v[132:133]
	v_fmac_f64_e32 v[134:135], v[102:103], v[56:57]
	v_mul_f64 v[130:131], v[92:93], v[62:63]
	v_fma_f64 v[92:93], v[92:93], v[60:61], -v[128:129]
	v_fmac_f64_e32 v[130:131], v[94:95], v[60:61]
	v_add_f64 v[92:93], v[80:81], -v[92:93]
	v_add_f64 v[94:95], v[82:83], -v[130:131]
	v_fma_f64 v[80:81], v[80:81], 2.0, -v[92:93]
	v_fma_f64 v[82:83], v[82:83], 2.0, -v[94:95]
	s_waitcnt vmcnt(1)
	v_mul_f64 v[138:139], v[98:99], v[70:71]
	v_mul_f64 v[140:141], v[96:97], v[70:71]
	v_fma_f64 v[102:103], v[96:97], v[68:69], -v[138:139]
	v_fmac_f64_e32 v[140:141], v[98:99], v[68:69]
	v_add_f64 v[96:97], v[76:77], -v[100:101]
	v_add_f64 v[100:101], v[64:65], -v[102:103]
	;; [unrolled: 1-line block ×4, first 2 shown]
	v_fma_f64 v[76:77], v[76:77], 2.0, -v[96:97]
	v_fma_f64 v[78:79], v[78:79], 2.0, -v[98:99]
	s_waitcnt vmcnt(0)
	v_mul_f64 v[122:123], v[108:109], v[46:47]
	v_fmac_f64_e32 v[122:123], v[110:111], v[44:45]
	v_mul_f64 v[90:91], v[110:111], v[46:47]
	v_fma_f64 v[110:111], v[66:67], 2.0, -v[102:103]
	v_add_f64 v[66:67], v[74:75], -v[122:123]
	v_cndmask_b32_e64 v122, 0, 22, s[0:1]
	v_add_u32_e32 v120, v120, v122
	v_lshl_add_u32 v161, v120, 4, v160
	ds_write_b128 v161, v[104:107]
	ds_write_b128 v161, v[112:115] offset:176
	v_mad_legacy_u16 v104, v119, 22, v121
	v_fma_f64 v[128:129], v[108:109], v[44:45], -v[90:91]
	v_add_f64 v[90:91], v[86:87], -v[126:127]
	v_and_b32_e32 v104, 0xff, v104
	v_fma_f64 v[86:87], v[86:87], 2.0, -v[90:91]
	v_lshl_add_u32 v162, v104, 4, v160
	ds_write_b128 v162, v[84:87]
	ds_write_b128 v162, v[88:91] offset:176
	v_mul_u32_u24_e32 v84, 22, v137
	v_add_u32_sdwa v84, v84, v142 dst_sel:DWORD dst_unused:UNUSED_PAD src0_sel:DWORD src1_sel:BYTE_0
	v_lshl_add_u32 v163, v84, 4, v160
	ds_write_b128 v163, v[80:83]
	ds_write_b128 v163, v[92:95] offset:176
	v_mul_u32_u24_e32 v80, 22, v143
	v_add_u32_sdwa v80, v80, v144 dst_sel:DWORD dst_unused:UNUSED_PAD src0_sel:DWORD src1_sel:BYTE_0
	;; [unrolled: 5-line block ×3, first 2 shown]
	v_fma_f64 v[108:109], v[64:65], 2.0, -v[100:101]
	v_add_f64 v[64:65], v[72:73], -v[128:129]
	v_lshl_add_u32 v165, v76, 4, v160
	ds_write_b128 v165, v[108:111]
	ds_write_b128 v165, v[100:103] offset:176
	s_and_saveexec_b64 s[0:1], vcc
	s_cbranch_execz .LBB0_5
; %bb.4:
	v_fma_f64 v[74:75], v[74:75], 2.0, -v[66:67]
	v_fma_f64 v[72:73], v[72:73], 2.0, -v[64:65]
	v_lshl_add_u32 v76, v118, 4, v160
	ds_write_b128 v76, v[72:75] offset:3520
	ds_write_b128 v76, v[64:67] offset:3696
.LBB0_5:
	s_or_b64 exec, exec, s[0:1]
	s_movk_i32 s0, 0xa0
	v_mov_b64_e32 v[72:73], s[10:11]
	v_mad_u64_u32 v[112:113], s[0:1], v156, s0, v[72:73]
	s_waitcnt lgkmcnt(0)
	s_barrier
	global_load_dwordx4 v[84:87], v[112:113], off offset:176
	global_load_dwordx4 v[80:83], v[112:113], off offset:192
	;; [unrolled: 1-line block ×10, first 2 shown]
	ds_read_b128 v[138:141], v159
	ds_read_b128 v[112:115], v159 offset:352
	ds_read_b128 v[132:135], v159 offset:704
	;; [unrolled: 1-line block ×10, first 2 shown]
	s_mov_b32 s0, 0xf8bb580b
	s_mov_b32 s12, 0x8eee2c13
	;; [unrolled: 1-line block ×25, first 2 shown]
	s_add_u32 s8, s8, 0xf20
	s_addc_u32 s9, s9, 0
	s_waitcnt vmcnt(9) lgkmcnt(9)
	v_mul_f64 v[122:123], v[114:115], v[86:87]
	v_mul_f64 v[154:155], v[112:113], v[86:87]
	s_waitcnt vmcnt(8) lgkmcnt(8)
	v_mul_f64 v[126:127], v[134:135], v[82:83]
	v_mul_f64 v[186:187], v[132:133], v[82:83]
	s_waitcnt vmcnt(6) lgkmcnt(6)
	v_mul_f64 v[128:129], v[146:147], v[74:75]
	s_waitcnt vmcnt(5) lgkmcnt(5)
	v_mul_f64 v[194:195], v[152:153], v[102:103]
	v_fma_f64 v[112:113], v[112:113], v[84:85], -v[122:123]
	v_fmac_f64_e32 v[154:155], v[114:115], v[84:85]
	v_mul_f64 v[188:189], v[144:145], v[78:79]
	s_waitcnt vmcnt(0) lgkmcnt(0)
	v_mul_f64 v[208:209], v[184:185], v[106:107]
	v_mul_f64 v[190:191], v[142:143], v[78:79]
	;; [unrolled: 1-line block ×5, first 2 shown]
	v_fma_f64 v[212:213], v[132:133], v[80:81], -v[126:127]
	v_fmac_f64_e32 v[186:187], v[134:135], v[80:81]
	v_fmac_f64_e32 v[128:129], v[148:149], v[72:73]
	v_fma_f64 v[122:123], v[150:151], v[100:101], -v[194:195]
	v_fma_f64 v[114:115], v[182:183], v[104:105], -v[208:209]
	v_add_f64 v[148:149], v[138:139], v[112:113]
	v_add_f64 v[150:151], v[140:141], v[154:155]
	v_mul_f64 v[196:197], v[168:169], v[98:99]
	v_fma_f64 v[142:143], v[142:143], v[76:77], -v[188:189]
	v_fmac_f64_e32 v[190:191], v[144:145], v[76:77]
	v_fmac_f64_e32 v[118:119], v[152:153], v[100:101]
	;; [unrolled: 1-line block ×3, first 2 shown]
	v_add_f64 v[152:153], v[112:113], v[114:115]
	v_add_f64 v[168:169], v[112:113], -v[114:115]
	v_add_f64 v[112:113], v[148:149], v[212:213]
	v_add_f64 v[148:149], v[150:151], v[186:187]
	v_fma_f64 v[132:133], v[146:147], v[72:73], -v[192:193]
	v_add_f64 v[112:113], v[112:113], v[142:143]
	v_add_f64 v[148:149], v[148:149], v[190:191]
	;; [unrolled: 1-line block ×4, first 2 shown]
	v_mul_f64 v[198:199], v[172:173], v[94:95]
	v_mul_f64 v[130:131], v[170:171], v[94:95]
	v_fma_f64 v[126:127], v[166:167], v[96:97], -v[196:197]
	v_add_f64 v[112:113], v[112:113], v[122:123]
	v_add_f64 v[148:149], v[148:149], v[118:119]
	v_mul_f64 v[200:201], v[176:177], v[90:91]
	v_mul_f64 v[202:203], v[174:175], v[90:91]
	v_fma_f64 v[134:135], v[170:171], v[92:93], -v[198:199]
	v_fmac_f64_e32 v[130:131], v[172:173], v[92:93]
	v_add_f64 v[112:113], v[112:113], v[126:127]
	v_add_f64 v[148:149], v[148:149], v[120:121]
	v_mul_f64 v[204:205], v[180:181], v[110:111]
	v_mul_f64 v[206:207], v[178:179], v[110:111]
	;; [unrolled: 1-line block ×3, first 2 shown]
	v_fma_f64 v[144:145], v[174:175], v[88:89], -v[200:201]
	v_fmac_f64_e32 v[202:203], v[176:177], v[88:89]
	v_add_f64 v[112:113], v[112:113], v[134:135]
	v_add_f64 v[148:149], v[148:149], v[130:131]
	v_fma_f64 v[146:147], v[178:179], v[108:109], -v[204:205]
	v_fmac_f64_e32 v[206:207], v[180:181], v[108:109]
	v_fmac_f64_e32 v[210:211], v[184:185], v[104:105]
	v_add_f64 v[112:113], v[112:113], v[144:145]
	v_add_f64 v[148:149], v[148:149], v[202:203]
	;; [unrolled: 1-line block ×3, first 2 shown]
	v_add_f64 v[154:155], v[154:155], -v[210:211]
	v_add_f64 v[112:113], v[112:113], v[146:147]
	v_add_f64 v[148:149], v[148:149], v[206:207]
	;; [unrolled: 1-line block ×4, first 2 shown]
	v_mul_f64 v[148:149], v[154:155], s[0:1]
	v_mul_f64 v[170:171], v[168:169], s[0:1]
	;; [unrolled: 1-line block ×10, first 2 shown]
	v_fma_f64 v[150:151], v[152:153], s[18:19], -v[148:149]
	v_fma_f64 v[172:173], s[18:19], v[166:167], v[170:171]
	v_fmac_f64_e32 v[148:149], s[18:19], v[152:153]
	v_fma_f64 v[170:171], v[166:167], s[18:19], -v[170:171]
	v_fma_f64 v[176:177], v[152:153], s[14:15], -v[174:175]
	v_fma_f64 v[180:181], s[14:15], v[166:167], v[178:179]
	v_fmac_f64_e32 v[174:175], s[14:15], v[152:153]
	v_fma_f64 v[178:179], v[166:167], s[14:15], -v[178:179]
	v_fma_f64 v[184:185], v[152:153], s[16:17], -v[182:183]
	v_fma_f64 v[192:193], s[16:17], v[166:167], v[188:189]
	v_fmac_f64_e32 v[182:183], s[16:17], v[152:153]
	v_fma_f64 v[188:189], v[166:167], s[16:17], -v[188:189]
	v_fma_f64 v[196:197], v[152:153], s[22:23], -v[194:195]
	v_fma_f64 v[200:201], s[22:23], v[166:167], v[198:199]
	v_fmac_f64_e32 v[194:195], s[22:23], v[152:153]
	v_fma_f64 v[198:199], v[166:167], s[22:23], -v[198:199]
	v_fma_f64 v[204:205], v[152:153], s[28:29], -v[154:155]
	v_fma_f64 v[208:209], s[28:29], v[166:167], v[168:169]
	v_fmac_f64_e32 v[154:155], s[28:29], v[152:153]
	v_fma_f64 v[152:153], v[166:167], s[28:29], -v[168:169]
	v_add_f64 v[166:167], v[186:187], -v[206:207]
	v_add_f64 v[172:173], v[140:141], v[172:173]
	v_add_f64 v[170:171], v[140:141], v[170:171]
	;; [unrolled: 1-line block ×11, first 2 shown]
	v_mul_f64 v[168:169], v[166:167], s[12:13]
	v_add_f64 v[150:151], v[138:139], v[150:151]
	v_add_f64 v[148:149], v[138:139], v[148:149]
	;; [unrolled: 1-line block ×11, first 2 shown]
	v_add_f64 v[146:147], v[212:213], -v[146:147]
	v_fma_f64 v[186:187], v[152:153], s[14:15], -v[168:169]
	v_add_f64 v[150:151], v[186:187], v[150:151]
	v_mul_f64 v[186:187], v[146:147], s[12:13]
	v_fmac_f64_e32 v[168:169], s[14:15], v[152:153]
	v_add_f64 v[148:149], v[168:169], v[148:149]
	v_fma_f64 v[168:169], v[154:155], s[14:15], -v[186:187]
	v_add_f64 v[168:169], v[168:169], v[170:171]
	v_mul_f64 v[170:171], v[166:167], s[20:21]
	v_fma_f64 v[206:207], s[14:15], v[154:155], v[186:187]
	v_fma_f64 v[186:187], v[152:153], s[22:23], -v[170:171]
	v_add_f64 v[176:177], v[186:187], v[176:177]
	v_mul_f64 v[186:187], v[146:147], s[20:21]
	v_fmac_f64_e32 v[170:171], s[22:23], v[152:153]
	v_add_f64 v[170:171], v[170:171], v[174:175]
	v_fma_f64 v[174:175], v[154:155], s[22:23], -v[186:187]
	v_add_f64 v[174:175], v[174:175], v[178:179]
	v_mul_f64 v[178:179], v[166:167], s[30:31]
	v_add_f64 v[172:173], v[206:207], v[172:173]
	v_fma_f64 v[206:207], s[22:23], v[154:155], v[186:187]
	v_fma_f64 v[186:187], v[152:153], s[28:29], -v[178:179]
	v_add_f64 v[184:185], v[186:187], v[184:185]
	v_mul_f64 v[186:187], v[146:147], s[30:31]
	v_fmac_f64_e32 v[178:179], s[28:29], v[152:153]
	v_add_f64 v[180:181], v[206:207], v[180:181]
	v_fma_f64 v[206:207], s[28:29], v[154:155], v[186:187]
	v_add_f64 v[178:179], v[178:179], v[182:183]
	v_fma_f64 v[182:183], v[154:155], s[28:29], -v[186:187]
	v_mul_f64 v[186:187], v[166:167], s[24:25]
	v_add_f64 v[182:183], v[182:183], v[188:189]
	v_fma_f64 v[188:189], v[152:153], s[16:17], -v[186:187]
	v_add_f64 v[188:189], v[188:189], v[196:197]
	v_mul_f64 v[196:197], v[146:147], s[24:25]
	v_fmac_f64_e32 v[186:187], s[16:17], v[152:153]
	v_add_f64 v[186:187], v[186:187], v[194:195]
	v_fma_f64 v[194:195], v[154:155], s[16:17], -v[196:197]
	v_mul_f64 v[146:147], v[146:147], s[34:35]
	v_add_f64 v[194:195], v[194:195], v[198:199]
	v_fma_f64 v[198:199], s[18:19], v[154:155], v[146:147]
	v_fma_f64 v[146:147], v[154:155], s[18:19], -v[146:147]
	v_mul_f64 v[166:167], v[166:167], s[34:35]
	v_add_f64 v[140:141], v[146:147], v[140:141]
	v_add_f64 v[146:147], v[142:143], v[144:145]
	v_add_f64 v[142:143], v[142:143], -v[144:145]
	v_add_f64 v[144:145], v[190:191], -v[202:203]
	v_add_f64 v[192:193], v[206:207], v[192:193]
	v_fma_f64 v[206:207], s[16:17], v[154:155], v[196:197]
	v_fma_f64 v[196:197], v[152:153], s[18:19], -v[166:167]
	v_fmac_f64_e32 v[166:167], s[18:19], v[152:153]
	v_mul_f64 v[154:155], v[144:145], s[10:11]
	v_add_f64 v[138:139], v[166:167], v[138:139]
	v_fma_f64 v[166:167], v[146:147], s[16:17], -v[154:155]
	v_add_f64 v[152:153], v[190:191], v[202:203]
	v_add_f64 v[150:151], v[166:167], v[150:151]
	v_mul_f64 v[166:167], v[142:143], s[10:11]
	v_fmac_f64_e32 v[154:155], s[16:17], v[146:147]
	v_fma_f64 v[190:191], s[16:17], v[152:153], v[166:167]
	v_add_f64 v[148:149], v[154:155], v[148:149]
	v_fma_f64 v[154:155], v[152:153], s[16:17], -v[166:167]
	v_mul_f64 v[166:167], v[144:145], s[30:31]
	v_add_f64 v[154:155], v[154:155], v[168:169]
	v_fma_f64 v[168:169], v[146:147], s[28:29], -v[166:167]
	v_add_f64 v[168:169], v[168:169], v[176:177]
	v_mul_f64 v[176:177], v[142:143], s[30:31]
	v_fmac_f64_e32 v[166:167], s[28:29], v[146:147]
	v_add_f64 v[166:167], v[166:167], v[170:171]
	v_fma_f64 v[170:171], v[152:153], s[28:29], -v[176:177]
	v_add_f64 v[170:171], v[170:171], v[174:175]
	v_mul_f64 v[174:175], v[144:145], s[36:37]
	v_add_f64 v[172:173], v[190:191], v[172:173]
	v_fma_f64 v[190:191], s[28:29], v[152:153], v[176:177]
	v_fma_f64 v[176:177], v[146:147], s[14:15], -v[174:175]
	v_add_f64 v[176:177], v[176:177], v[184:185]
	v_mul_f64 v[184:185], v[142:143], s[36:37]
	v_fmac_f64_e32 v[174:175], s[14:15], v[146:147]
	v_add_f64 v[174:175], v[174:175], v[178:179]
	v_fma_f64 v[178:179], v[152:153], s[14:15], -v[184:185]
	v_add_f64 v[178:179], v[178:179], v[182:183]
	v_mul_f64 v[182:183], v[144:145], s[0:1]
	v_add_f64 v[180:181], v[190:191], v[180:181]
	v_fma_f64 v[190:191], s[14:15], v[152:153], v[184:185]
	v_fma_f64 v[184:185], v[146:147], s[18:19], -v[182:183]
	v_add_f64 v[184:185], v[184:185], v[188:189]
	v_mul_f64 v[188:189], v[142:143], s[0:1]
	v_fmac_f64_e32 v[182:183], s[18:19], v[146:147]
	v_mul_f64 v[144:145], v[144:145], s[20:21]
	v_add_f64 v[190:191], v[190:191], v[192:193]
	v_fma_f64 v[192:193], s[18:19], v[152:153], v[188:189]
	v_add_f64 v[182:183], v[182:183], v[186:187]
	v_fma_f64 v[186:187], v[152:153], s[18:19], -v[188:189]
	v_fma_f64 v[188:189], v[146:147], s[22:23], -v[144:145]
	v_mul_f64 v[142:143], v[142:143], s[20:21]
	v_fmac_f64_e32 v[144:145], s[22:23], v[146:147]
	v_add_f64 v[186:187], v[186:187], v[194:195]
	v_fma_f64 v[194:195], s[22:23], v[152:153], v[142:143]
	v_add_f64 v[138:139], v[144:145], v[138:139]
	v_fma_f64 v[142:143], v[152:153], s[22:23], -v[142:143]
	v_add_f64 v[144:145], v[128:129], v[130:131]
	v_add_f64 v[128:129], v[128:129], -v[130:131]
	v_add_f64 v[140:141], v[142:143], v[140:141]
	v_add_f64 v[142:143], v[132:133], v[134:135]
	v_add_f64 v[132:133], v[132:133], -v[134:135]
	v_mul_f64 v[130:131], v[128:129], s[20:21]
	v_fma_f64 v[134:135], v[142:143], s[22:23], -v[130:131]
	v_mul_f64 v[146:147], v[132:133], s[20:21]
	v_fmac_f64_e32 v[130:131], s[22:23], v[142:143]
	v_add_f64 v[134:135], v[134:135], v[150:151]
	v_fma_f64 v[150:151], s[22:23], v[144:145], v[146:147]
	v_add_f64 v[130:131], v[130:131], v[148:149]
	v_fma_f64 v[146:147], v[144:145], s[22:23], -v[146:147]
	v_mul_f64 v[148:149], v[128:129], s[24:25]
	v_add_f64 v[146:147], v[146:147], v[154:155]
	v_fma_f64 v[152:153], v[142:143], s[16:17], -v[148:149]
	v_mul_f64 v[154:155], v[132:133], s[24:25]
	v_fmac_f64_e32 v[148:149], s[16:17], v[142:143]
	v_add_f64 v[152:153], v[152:153], v[168:169]
	v_fma_f64 v[168:169], s[16:17], v[144:145], v[154:155]
	v_add_f64 v[148:149], v[148:149], v[166:167]
	v_fma_f64 v[154:155], v[144:145], s[16:17], -v[154:155]
	v_mul_f64 v[166:167], v[128:129], s[0:1]
	v_add_f64 v[150:151], v[150:151], v[172:173]
	v_add_f64 v[154:155], v[154:155], v[170:171]
	v_fma_f64 v[170:171], v[142:143], s[18:19], -v[166:167]
	v_mul_f64 v[172:173], v[132:133], s[0:1]
	v_fmac_f64_e32 v[166:167], s[18:19], v[142:143]
	v_add_f64 v[170:171], v[170:171], v[176:177]
	v_fma_f64 v[176:177], s[18:19], v[144:145], v[172:173]
	v_add_f64 v[166:167], v[166:167], v[174:175]
	v_fma_f64 v[172:173], v[144:145], s[18:19], -v[172:173]
	v_mul_f64 v[174:175], v[128:129], s[26:27]
	v_add_f64 v[200:201], v[206:207], v[200:201]
	v_add_f64 v[196:197], v[196:197], v[204:205]
	;; [unrolled: 1-line block ×4, first 2 shown]
	v_fma_f64 v[178:179], v[142:143], s[28:29], -v[174:175]
	v_mul_f64 v[180:181], v[132:133], s[26:27]
	v_add_f64 v[198:199], v[198:199], v[208:209]
	v_add_f64 v[192:193], v[192:193], v[200:201]
	;; [unrolled: 1-line block ×4, first 2 shown]
	v_fma_f64 v[184:185], s[28:29], v[144:145], v[180:181]
	v_fma_f64 v[180:181], v[144:145], s[28:29], -v[180:181]
	v_mul_f64 v[132:133], v[132:133], s[36:37]
	v_add_f64 v[196:197], v[118:119], -v[120:121]
	v_add_f64 v[194:195], v[194:195], v[198:199]
	v_add_f64 v[184:185], v[184:185], v[192:193]
	v_fmac_f64_e32 v[174:175], s[28:29], v[142:143]
	v_add_f64 v[180:181], v[180:181], v[186:187]
	v_mul_f64 v[128:129], v[128:129], s[36:37]
	v_fma_f64 v[186:187], s[14:15], v[144:145], v[132:133]
	v_add_f64 v[192:193], v[122:123], v[126:127]
	v_add_f64 v[122:123], v[122:123], -v[126:127]
	v_mul_f64 v[126:127], v[196:197], s[26:27]
	v_add_f64 v[174:175], v[174:175], v[182:183]
	v_fma_f64 v[182:183], v[142:143], s[14:15], -v[128:129]
	v_add_f64 v[186:187], v[186:187], v[194:195]
	v_fmac_f64_e32 v[128:129], s[14:15], v[142:143]
	v_add_f64 v[194:195], v[118:119], v[120:121]
	v_fma_f64 v[118:119], v[192:193], s[28:29], -v[126:127]
	v_add_f64 v[182:183], v[182:183], v[188:189]
	v_add_f64 v[188:189], v[128:129], v[138:139]
	v_fma_f64 v[128:129], v[144:145], s[14:15], -v[132:133]
	v_add_f64 v[118:119], v[118:119], v[134:135]
	v_fmac_f64_e32 v[126:127], s[28:29], v[192:193]
	v_mul_f64 v[134:135], v[196:197], s[34:35]
	v_add_f64 v[176:177], v[176:177], v[190:191]
	v_add_f64 v[190:191], v[128:129], v[140:141]
	;; [unrolled: 1-line block ×3, first 2 shown]
	v_fma_f64 v[130:131], v[192:193], s[18:19], -v[134:135]
	v_mul_f64 v[140:141], v[122:123], s[34:35]
	v_fmac_f64_e32 v[134:135], s[18:19], v[192:193]
	v_add_f64 v[138:139], v[134:135], v[148:149]
	v_fma_f64 v[134:135], v[194:195], s[18:19], -v[140:141]
	v_mul_f64 v[128:129], v[122:123], s[26:27]
	v_fma_f64 v[132:133], s[18:19], v[194:195], v[140:141]
	v_add_f64 v[140:141], v[134:135], v[154:155]
	v_mul_f64 v[134:135], v[196:197], s[20:21]
	v_fma_f64 v[120:121], s[28:29], v[194:195], v[128:129]
	v_fma_f64 v[128:129], v[194:195], s[28:29], -v[128:129]
	v_fma_f64 v[142:143], v[192:193], s[22:23], -v[134:135]
	v_mul_f64 v[148:149], v[122:123], s[20:21]
	v_fmac_f64_e32 v[134:135], s[22:23], v[192:193]
	v_add_f64 v[128:129], v[128:129], v[146:147]
	v_add_f64 v[146:147], v[134:135], v[166:167]
	v_fma_f64 v[134:135], v[194:195], s[22:23], -v[148:149]
	v_fma_f64 v[144:145], s[22:23], v[194:195], v[148:149]
	v_add_f64 v[148:149], v[134:135], v[172:173]
	v_mul_f64 v[134:135], v[196:197], s[36:37]
	v_add_f64 v[120:121], v[120:121], v[150:151]
	v_fma_f64 v[150:151], v[192:193], s[14:15], -v[134:135]
	v_mul_f64 v[154:155], v[122:123], s[36:37]
	v_fmac_f64_e32 v[134:135], s[14:15], v[192:193]
	v_add_f64 v[166:167], v[134:135], v[174:175]
	v_fma_f64 v[134:135], v[194:195], s[14:15], -v[154:155]
	v_add_f64 v[132:133], v[132:133], v[168:169]
	v_add_f64 v[168:169], v[134:135], v[180:181]
	v_mul_f64 v[134:135], v[196:197], s[10:11]
	v_add_f64 v[130:131], v[130:131], v[152:153]
	v_fma_f64 v[152:153], s[14:15], v[194:195], v[154:155]
	v_fma_f64 v[154:155], v[192:193], s[16:17], -v[134:135]
	v_mul_f64 v[122:123], v[122:123], s[10:11]
	v_add_f64 v[142:143], v[142:143], v[170:171]
	v_add_f64 v[170:171], v[154:155], v[182:183]
	v_fma_f64 v[154:155], s[16:17], v[194:195], v[122:123]
	v_fmac_f64_e32 v[134:135], s[16:17], v[192:193]
	v_fma_f64 v[122:123], v[194:195], s[16:17], -v[122:123]
	v_add_f64 v[144:145], v[144:145], v[176:177]
	v_add_f64 v[150:151], v[150:151], v[178:179]
	;; [unrolled: 1-line block ×6, first 2 shown]
	ds_write_b128 v159, v[112:115]
	ds_write_b128 v159, v[118:121] offset:352
	ds_write_b128 v159, v[130:133] offset:704
	;; [unrolled: 1-line block ×10, first 2 shown]
	s_waitcnt lgkmcnt(0)
	s_barrier
	global_load_dwordx4 v[112:115], v[116:117], off offset:3872
	s_nop 0
	global_load_dwordx4 v[116:119], v124, s[8:9] offset:352
	global_load_dwordx4 v[120:123], v124, s[8:9] offset:704
	;; [unrolled: 1-line block ×10, first 2 shown]
	ds_read_b128 v[174:177], v159
	ds_read_b128 v[178:181], v159 offset:352
	s_mov_b32 s9, 0x3fe82f19
	s_mov_b32 s8, s20
	s_waitcnt vmcnt(10) lgkmcnt(1)
	v_mul_f64 v[124:125], v[176:177], v[114:115]
	v_mul_f64 v[184:185], v[174:175], v[114:115]
	v_fma_f64 v[182:183], v[174:175], v[112:113], -v[124:125]
	v_fmac_f64_e32 v[184:185], v[176:177], v[112:113]
	ds_read_b128 v[174:177], v159 offset:704
	s_waitcnt vmcnt(9) lgkmcnt(1)
	v_mul_f64 v[112:113], v[180:181], v[118:119]
	v_mul_f64 v[114:115], v[178:179], v[118:119]
	v_fma_f64 v[112:113], v[178:179], v[116:117], -v[112:113]
	v_fmac_f64_e32 v[114:115], v[180:181], v[116:117]
	ds_write_b128 v159, v[112:115] offset:352
	ds_read_b128 v[112:115], v159 offset:1056
	s_waitcnt vmcnt(8) lgkmcnt(2)
	v_mul_f64 v[116:117], v[176:177], v[122:123]
	v_mul_f64 v[118:119], v[174:175], v[122:123]
	v_fma_f64 v[116:117], v[174:175], v[120:121], -v[116:117]
	v_fmac_f64_e32 v[118:119], v[176:177], v[120:121]
	ds_read_b128 v[120:123], v159 offset:1408
	ds_write_b128 v159, v[116:119] offset:704
	s_waitcnt vmcnt(7) lgkmcnt(2)
	v_mul_f64 v[116:117], v[114:115], v[128:129]
	v_mul_f64 v[118:119], v[112:113], v[128:129]
	v_fma_f64 v[116:117], v[112:113], v[126:127], -v[116:117]
	v_fmac_f64_e32 v[118:119], v[114:115], v[126:127]
	ds_read_b128 v[112:115], v159 offset:1760
	ds_write_b128 v159, v[116:119] offset:1056
	;; [unrolled: 7-line block ×6, first 2 shown]
	s_waitcnt vmcnt(2) lgkmcnt(3)
	v_mul_f64 v[116:117], v[122:123], v[152:153]
	v_mul_f64 v[118:119], v[120:121], v[152:153]
	v_fma_f64 v[116:117], v[120:121], v[150:151], -v[116:117]
	v_fmac_f64_e32 v[118:119], v[122:123], v[150:151]
	ds_write_b128 v159, v[116:119] offset:2816
	ds_read_b128 v[116:119], v159 offset:3520
	s_waitcnt vmcnt(1) lgkmcnt(3)
	v_mul_f64 v[120:121], v[114:115], v[168:169]
	v_mul_f64 v[122:123], v[112:113], v[168:169]
	v_fma_f64 v[120:121], v[112:113], v[166:167], -v[120:121]
	v_fmac_f64_e32 v[122:123], v[114:115], v[166:167]
	s_waitcnt vmcnt(0) lgkmcnt(0)
	v_mul_f64 v[112:113], v[118:119], v[172:173]
	v_mul_f64 v[114:115], v[116:117], v[172:173]
	v_fma_f64 v[112:113], v[116:117], v[170:171], -v[112:113]
	v_fmac_f64_e32 v[114:115], v[118:119], v[170:171]
	ds_write_b128 v159, v[182:185]
	ds_write_b128 v159, v[120:123] offset:3168
	ds_write_b128 v159, v[112:115] offset:3520
	s_waitcnt lgkmcnt(0)
	s_barrier
	ds_read_b128 v[128:131], v159
	ds_read_b128 v[132:135], v159 offset:352
	ds_read_b128 v[138:141], v159 offset:704
	;; [unrolled: 1-line block ×10, first 2 shown]
	s_waitcnt lgkmcnt(9)
	v_add_f64 v[116:117], v[128:129], v[132:133]
	v_add_f64 v[118:119], v[130:131], v[134:135]
	s_waitcnt lgkmcnt(8)
	v_add_f64 v[116:117], v[116:117], v[138:139]
	v_add_f64 v[118:119], v[118:119], v[140:141]
	;; [unrolled: 3-line block ×8, first 2 shown]
	s_waitcnt lgkmcnt(1)
	v_add_f64 v[116:117], v[116:117], v[166:167]
	s_waitcnt lgkmcnt(0)
	v_add_f64 v[174:175], v[134:135], v[172:173]
	v_add_f64 v[134:135], v[134:135], -v[172:173]
	v_add_f64 v[118:119], v[118:119], v[168:169]
	v_add_f64 v[116:117], v[116:117], v[170:171]
	;; [unrolled: 1-line block ×3, first 2 shown]
	v_add_f64 v[132:133], v[132:133], -v[170:171]
	v_mul_f64 v[170:171], v[134:135], s[0:1]
	v_mul_f64 v[180:181], v[134:135], s[12:13]
	;; [unrolled: 1-line block ×5, first 2 shown]
	v_add_f64 v[118:119], v[118:119], v[172:173]
	v_fma_f64 v[172:173], s[18:19], v[154:155], v[170:171]
	v_fma_f64 v[170:171], v[154:155], s[18:19], -v[170:171]
	v_fma_f64 v[182:183], s[14:15], v[154:155], v[180:181]
	v_fma_f64 v[180:181], v[154:155], s[14:15], -v[180:181]
	;; [unrolled: 2-line block ×5, first 2 shown]
	v_add_f64 v[172:173], v[128:129], v[172:173]
	v_mul_f64 v[176:177], v[174:175], s[18:19]
	v_add_f64 v[170:171], v[128:129], v[170:171]
	v_add_f64 v[182:183], v[128:129], v[182:183]
	v_mul_f64 v[184:185], v[174:175], s[14:15]
	v_add_f64 v[180:181], v[128:129], v[180:181]
	;; [unrolled: 3-line block ×5, first 2 shown]
	v_add_f64 v[134:135], v[140:141], v[168:169]
	v_add_f64 v[140:141], v[140:141], -v[168:169]
	v_fma_f64 v[178:179], s[34:35], v[132:133], v[176:177]
	v_fmac_f64_e32 v[176:177], s[0:1], v[132:133]
	v_fma_f64 v[186:187], s[36:37], v[132:133], v[184:185]
	v_fmac_f64_e32 v[184:185], s[12:13], v[132:133]
	;; [unrolled: 2-line block ×5, first 2 shown]
	v_add_f64 v[132:133], v[138:139], v[166:167]
	v_mul_f64 v[154:155], v[140:141], s[12:13]
	v_add_f64 v[138:139], v[138:139], -v[166:167]
	v_fma_f64 v[166:167], s[14:15], v[132:133], v[154:155]
	v_mul_f64 v[168:169], v[134:135], s[14:15]
	v_fma_f64 v[154:155], v[132:133], s[14:15], -v[154:155]
	v_add_f64 v[176:177], v[130:131], v[176:177]
	v_add_f64 v[166:167], v[166:167], v[172:173]
	v_fma_f64 v[172:173], s[36:37], v[138:139], v[168:169]
	v_add_f64 v[154:155], v[154:155], v[170:171]
	v_fmac_f64_e32 v[168:169], s[12:13], v[138:139]
	v_mul_f64 v[170:171], v[140:141], s[20:21]
	v_add_f64 v[178:179], v[130:131], v[178:179]
	v_add_f64 v[186:187], v[130:131], v[186:187]
	;; [unrolled: 1-line block ×10, first 2 shown]
	v_fma_f64 v[174:175], s[22:23], v[132:133], v[170:171]
	v_mul_f64 v[176:177], v[134:135], s[22:23]
	v_fma_f64 v[170:171], v[132:133], s[22:23], -v[170:171]
	v_add_f64 v[172:173], v[172:173], v[178:179]
	v_fma_f64 v[178:179], s[8:9], v[138:139], v[176:177]
	v_add_f64 v[170:171], v[170:171], v[180:181]
	v_fmac_f64_e32 v[176:177], s[20:21], v[138:139]
	v_mul_f64 v[180:181], v[140:141], s[30:31]
	v_add_f64 v[174:175], v[174:175], v[182:183]
	v_add_f64 v[176:177], v[176:177], v[184:185]
	v_fma_f64 v[182:183], s[28:29], v[132:133], v[180:181]
	v_mul_f64 v[184:185], v[134:135], s[28:29]
	v_fma_f64 v[180:181], v[132:133], s[28:29], -v[180:181]
	v_add_f64 v[178:179], v[178:179], v[186:187]
	v_fma_f64 v[186:187], s[26:27], v[138:139], v[184:185]
	v_add_f64 v[180:181], v[180:181], v[188:189]
	v_fmac_f64_e32 v[184:185], s[30:31], v[138:139]
	v_mul_f64 v[188:189], v[140:141], s[24:25]
	v_add_f64 v[182:183], v[182:183], v[190:191]
	v_add_f64 v[184:185], v[184:185], v[192:193]
	v_fma_f64 v[190:191], s[16:17], v[132:133], v[188:189]
	v_mul_f64 v[192:193], v[134:135], s[16:17]
	v_fma_f64 v[188:189], v[132:133], s[16:17], -v[188:189]
	v_mul_f64 v[140:141], v[140:141], s[34:35]
	v_mul_f64 v[134:135], v[134:135], s[18:19]
	v_add_f64 v[190:191], v[190:191], v[198:199]
	v_add_f64 v[188:189], v[188:189], v[196:197]
	v_fma_f64 v[196:197], s[18:19], v[132:133], v[140:141]
	v_fma_f64 v[198:199], s[0:1], v[138:139], v[134:135]
	v_fma_f64 v[132:133], v[132:133], s[18:19], -v[140:141]
	v_fmac_f64_e32 v[134:135], s[34:35], v[138:139]
	v_add_f64 v[140:141], v[144:145], -v[152:153]
	v_add_f64 v[186:187], v[186:187], v[194:195]
	v_fma_f64 v[194:195], s[10:11], v[138:139], v[192:193]
	v_fmac_f64_e32 v[192:193], s[24:25], v[138:139]
	v_add_f64 v[128:129], v[132:133], v[128:129]
	v_add_f64 v[130:131], v[134:135], v[130:131]
	;; [unrolled: 1-line block ×4, first 2 shown]
	v_add_f64 v[138:139], v[142:143], -v[150:151]
	v_mul_f64 v[142:143], v[140:141], s[10:11]
	v_fma_f64 v[144:145], s[16:17], v[132:133], v[142:143]
	v_mul_f64 v[150:151], v[134:135], s[16:17]
	v_fma_f64 v[142:143], v[132:133], s[16:17], -v[142:143]
	v_fma_f64 v[152:153], s[24:25], v[138:139], v[150:151]
	v_add_f64 v[142:143], v[142:143], v[154:155]
	v_fmac_f64_e32 v[150:151], s[10:11], v[138:139]
	v_mul_f64 v[154:155], v[140:141], s[30:31]
	v_add_f64 v[144:145], v[144:145], v[166:167]
	v_add_f64 v[150:151], v[150:151], v[168:169]
	v_fma_f64 v[166:167], s[28:29], v[132:133], v[154:155]
	v_mul_f64 v[168:169], v[134:135], s[28:29]
	v_fma_f64 v[154:155], v[132:133], s[28:29], -v[154:155]
	v_add_f64 v[152:153], v[152:153], v[172:173]
	v_fma_f64 v[172:173], s[26:27], v[138:139], v[168:169]
	v_add_f64 v[154:155], v[154:155], v[170:171]
	v_fmac_f64_e32 v[168:169], s[30:31], v[138:139]
	v_mul_f64 v[170:171], v[140:141], s[36:37]
	v_add_f64 v[166:167], v[166:167], v[174:175]
	v_add_f64 v[168:169], v[168:169], v[176:177]
	v_fma_f64 v[174:175], s[14:15], v[132:133], v[170:171]
	v_mul_f64 v[176:177], v[134:135], s[14:15]
	v_fma_f64 v[170:171], v[132:133], s[14:15], -v[170:171]
	v_add_f64 v[172:173], v[172:173], v[178:179]
	v_fma_f64 v[178:179], s[12:13], v[138:139], v[176:177]
	v_add_f64 v[170:171], v[170:171], v[180:181]
	v_fmac_f64_e32 v[176:177], s[36:37], v[138:139]
	v_mul_f64 v[180:181], v[140:141], s[0:1]
	v_add_f64 v[174:175], v[174:175], v[182:183]
	v_add_f64 v[176:177], v[176:177], v[184:185]
	v_fma_f64 v[182:183], s[18:19], v[132:133], v[180:181]
	v_mul_f64 v[184:185], v[134:135], s[18:19]
	v_mul_f64 v[134:135], v[134:135], s[22:23]
	v_add_f64 v[182:183], v[182:183], v[190:191]
	v_fma_f64 v[180:181], v[132:133], s[18:19], -v[180:181]
	v_mul_f64 v[140:141], v[140:141], s[20:21]
	v_fma_f64 v[190:191], s[8:9], v[138:139], v[134:135]
	v_fmac_f64_e32 v[134:135], s[20:21], v[138:139]
	v_add_f64 v[180:181], v[180:181], v[188:189]
	v_fma_f64 v[188:189], s[22:23], v[132:133], v[140:141]
	v_fma_f64 v[132:133], v[132:133], s[22:23], -v[140:141]
	v_add_f64 v[130:131], v[134:135], v[130:131]
	v_add_f64 v[134:135], v[126:127], v[148:149]
	v_add_f64 v[126:127], v[126:127], -v[148:149]
	v_add_f64 v[178:179], v[178:179], v[186:187]
	v_fma_f64 v[186:187], s[34:35], v[138:139], v[184:185]
	v_fmac_f64_e32 v[184:185], s[0:1], v[138:139]
	v_add_f64 v[128:129], v[132:133], v[128:129]
	v_add_f64 v[132:133], v[124:125], v[146:147]
	v_mul_f64 v[138:139], v[126:127], s[20:21]
	v_fma_f64 v[140:141], s[22:23], v[132:133], v[138:139]
	v_add_f64 v[124:125], v[124:125], -v[146:147]
	v_add_f64 v[140:141], v[140:141], v[144:145]
	v_mul_f64 v[144:145], v[134:135], s[22:23]
	v_fma_f64 v[146:147], s[8:9], v[124:125], v[144:145]
	v_fma_f64 v[138:139], v[132:133], s[22:23], -v[138:139]
	v_fmac_f64_e32 v[144:145], s[20:21], v[124:125]
	v_add_f64 v[138:139], v[138:139], v[142:143]
	v_add_f64 v[142:143], v[144:145], v[150:151]
	v_mul_f64 v[144:145], v[126:127], s[24:25]
	v_fma_f64 v[148:149], s[16:17], v[132:133], v[144:145]
	v_fma_f64 v[144:145], v[132:133], s[16:17], -v[144:145]
	v_mul_f64 v[150:151], v[134:135], s[16:17]
	v_add_f64 v[144:145], v[144:145], v[154:155]
	v_mul_f64 v[154:155], v[126:127], s[0:1]
	v_add_f64 v[146:147], v[146:147], v[152:153]
	v_add_f64 v[148:149], v[148:149], v[166:167]
	v_fma_f64 v[152:153], s[10:11], v[124:125], v[150:151]
	v_fmac_f64_e32 v[150:151], s[24:25], v[124:125]
	v_fma_f64 v[166:167], s[18:19], v[132:133], v[154:155]
	v_fma_f64 v[154:155], v[132:133], s[18:19], -v[154:155]
	v_add_f64 v[150:151], v[150:151], v[168:169]
	v_mul_f64 v[168:169], v[134:135], s[18:19]
	v_add_f64 v[154:155], v[154:155], v[170:171]
	v_mul_f64 v[170:171], v[126:127], s[26:27]
	v_add_f64 v[194:195], v[194:195], v[202:203]
	v_add_f64 v[196:197], v[196:197], v[204:205]
	;; [unrolled: 1-line block ×4, first 2 shown]
	v_fma_f64 v[172:173], s[34:35], v[124:125], v[168:169]
	v_fmac_f64_e32 v[168:169], s[0:1], v[124:125]
	v_fma_f64 v[174:175], s[28:29], v[132:133], v[170:171]
	v_fma_f64 v[170:171], v[132:133], s[28:29], -v[170:171]
	v_mul_f64 v[126:127], v[126:127], s[36:37]
	v_add_f64 v[192:193], v[192:193], v[200:201]
	v_add_f64 v[198:199], v[198:199], v[206:207]
	;; [unrolled: 1-line block ×5, first 2 shown]
	v_mul_f64 v[176:177], v[134:135], s[28:29]
	v_add_f64 v[170:171], v[170:171], v[180:181]
	v_fma_f64 v[180:181], s[14:15], v[132:133], v[126:127]
	v_mul_f64 v[134:135], v[134:135], s[14:15]
	v_add_f64 v[194:195], v[114:115], -v[122:123]
	v_add_f64 v[184:185], v[184:185], v[192:193]
	v_add_f64 v[190:191], v[190:191], v[198:199]
	;; [unrolled: 1-line block ×4, first 2 shown]
	v_fma_f64 v[182:183], s[12:13], v[124:125], v[134:135]
	v_add_f64 v[188:189], v[112:113], v[120:121]
	v_add_f64 v[192:193], v[112:113], -v[120:121]
	v_mul_f64 v[112:113], v[194:195], s[26:27]
	v_add_f64 v[172:173], v[172:173], v[178:179]
	v_fma_f64 v[178:179], s[30:31], v[124:125], v[176:177]
	v_fmac_f64_e32 v[176:177], s[26:27], v[124:125]
	v_add_f64 v[182:183], v[182:183], v[190:191]
	v_fma_f64 v[126:127], v[132:133], s[14:15], -v[126:127]
	v_add_f64 v[190:191], v[114:115], v[122:123]
	v_fma_f64 v[114:115], s[28:29], v[188:189], v[112:113]
	v_fma_f64 v[112:113], v[188:189], s[28:29], -v[112:113]
	v_add_f64 v[176:177], v[176:177], v[184:185]
	v_add_f64 v[184:185], v[126:127], v[128:129]
	v_fmac_f64_e32 v[134:135], s[36:37], v[124:125]
	v_add_f64 v[120:121], v[114:115], v[140:141]
	v_mul_f64 v[114:115], v[190:191], s[28:29]
	v_add_f64 v[112:113], v[112:113], v[138:139]
	v_mul_f64 v[128:129], v[194:195], s[34:35]
	v_mul_f64 v[138:139], v[194:195], s[20:21]
	;; [unrolled: 1-line block ×3, first 2 shown]
	v_add_f64 v[178:179], v[178:179], v[186:187]
	v_add_f64 v[186:187], v[134:135], v[130:131]
	v_fma_f64 v[122:123], s[30:31], v[192:193], v[114:115]
	v_fma_f64 v[124:125], s[18:19], v[188:189], v[128:129]
	v_mul_f64 v[130:131], v[190:191], s[18:19]
	v_fma_f64 v[132:133], s[22:23], v[188:189], v[138:139]
	v_fma_f64 v[134:135], s[8:9], v[192:193], v[140:141]
	v_fma_f64 v[138:139], v[188:189], s[22:23], -v[138:139]
	v_fmac_f64_e32 v[140:141], s[20:21], v[192:193]
	v_add_f64 v[122:123], v[122:123], v[146:147]
	v_fmac_f64_e32 v[114:115], s[26:27], v[192:193]
	v_add_f64 v[124:125], v[124:125], v[148:149]
	v_fma_f64 v[126:127], s[0:1], v[192:193], v[130:131]
	v_fma_f64 v[128:129], v[188:189], s[18:19], -v[128:129]
	v_fmac_f64_e32 v[130:131], s[34:35], v[192:193]
	v_add_f64 v[138:139], v[138:139], v[154:155]
	v_add_f64 v[140:141], v[140:141], v[168:169]
	v_mul_f64 v[146:147], v[194:195], s[36:37]
	v_mul_f64 v[148:149], v[190:191], s[14:15]
	;; [unrolled: 1-line block ×4, first 2 shown]
	v_add_f64 v[114:115], v[114:115], v[142:143]
	v_add_f64 v[126:127], v[126:127], v[152:153]
	;; [unrolled: 1-line block ×4, first 2 shown]
	v_fma_f64 v[142:143], s[14:15], v[188:189], v[146:147]
	v_fma_f64 v[144:145], s[12:13], v[192:193], v[148:149]
	v_fma_f64 v[146:147], v[188:189], s[14:15], -v[146:147]
	v_fmac_f64_e32 v[148:149], s[36:37], v[192:193]
	v_fma_f64 v[150:151], s[16:17], v[188:189], v[154:155]
	v_fma_f64 v[152:153], s[24:25], v[192:193], v[168:169]
	v_add_f64 v[132:133], v[132:133], v[166:167]
	v_add_f64 v[134:135], v[134:135], v[172:173]
	;; [unrolled: 1-line block ×8, first 2 shown]
	v_fma_f64 v[154:155], v[188:189], s[16:17], -v[154:155]
	v_fmac_f64_e32 v[168:169], s[10:11], v[192:193]
	v_add_f64 v[166:167], v[154:155], v[184:185]
	v_add_f64 v[168:169], v[168:169], v[186:187]
	s_barrier
	ds_write_b128 v136, v[116:119]
	ds_write_b128 v136, v[120:123] offset:16
	ds_write_b128 v136, v[124:127] offset:32
	;; [unrolled: 1-line block ×10, first 2 shown]
	s_waitcnt lgkmcnt(0)
	s_barrier
	ds_read_b128 v[132:135], v159
	ds_read_b128 v[128:131], v159 offset:352
	ds_read_b128 v[148:151], v159 offset:2288
	;; [unrolled: 1-line block ×9, first 2 shown]
	s_and_saveexec_b64 s[0:1], vcc
	s_cbranch_execz .LBB0_7
; %bb.6:
	ds_read_b128 v[112:115], v159 offset:1760
	ds_read_b128 v[64:67], v159 offset:3696
.LBB0_7:
	s_or_b64 exec, exec, s[0:1]
	s_waitcnt lgkmcnt(3)
	v_mul_f64 v[166:167], v[54:55], v[154:155]
	v_fmac_f64_e32 v[166:167], v[52:53], v[152:153]
	v_mul_f64 v[54:55], v[54:55], v[152:153]
	v_mul_f64 v[152:153], v[50:51], v[150:151]
	;; [unrolled: 1-line block ×3, first 2 shown]
	v_fmac_f64_e32 v[152:153], v[48:49], v[148:149]
	v_fma_f64 v[148:149], v[48:49], v[150:151], -v[50:51]
	v_mul_f64 v[150:151], v[62:63], v[142:143]
	v_mul_f64 v[48:49], v[62:63], v[140:141]
	v_fmac_f64_e32 v[150:151], v[60:61], v[140:141]
	v_fma_f64 v[140:141], v[60:61], v[142:143], -v[48:49]
	s_waitcnt lgkmcnt(1)
	v_mul_f64 v[142:143], v[58:59], v[146:147]
	v_mul_f64 v[48:49], v[58:59], v[144:145]
	v_fma_f64 v[52:53], v[52:53], v[154:155], -v[54:55]
	v_fmac_f64_e32 v[142:143], v[56:57], v[144:145]
	v_fma_f64 v[144:145], v[56:57], v[146:147], -v[48:49]
	s_waitcnt lgkmcnt(0)
	v_mul_f64 v[146:147], v[70:71], v[138:139]
	v_mul_f64 v[48:49], v[70:71], v[136:137]
	v_fmac_f64_e32 v[146:147], v[68:69], v[136:137]
	v_fma_f64 v[136:137], v[68:69], v[138:139], -v[48:49]
	v_add_f64 v[48:49], v[132:133], -v[166:167]
	v_add_f64 v[50:51], v[134:135], -v[52:53]
	v_add_f64 v[56:57], v[128:129], -v[152:153]
	v_add_f64 v[58:59], v[130:131], -v[148:149]
	v_fma_f64 v[52:53], v[132:133], 2.0, -v[48:49]
	v_fma_f64 v[54:55], v[134:135], 2.0, -v[50:51]
	;; [unrolled: 1-line block ×4, first 2 shown]
	v_add_f64 v[68:69], v[124:125], -v[150:151]
	v_add_f64 v[70:71], v[126:127], -v[140:141]
	;; [unrolled: 1-line block ×6, first 2 shown]
	v_fma_f64 v[124:125], v[124:125], 2.0, -v[68:69]
	v_fma_f64 v[126:127], v[126:127], 2.0, -v[70:71]
	v_fma_f64 v[120:121], v[120:121], 2.0, -v[128:129]
	v_fma_f64 v[122:123], v[122:123], 2.0, -v[130:131]
	v_fma_f64 v[116:117], v[116:117], 2.0, -v[132:133]
	v_fma_f64 v[118:119], v[118:119], 2.0, -v[134:135]
	s_barrier
	ds_write_b128 v161, v[52:55]
	ds_write_b128 v161, v[48:51] offset:176
	ds_write_b128 v162, v[60:63]
	ds_write_b128 v162, v[56:59] offset:176
	;; [unrolled: 2-line block ×5, first 2 shown]
	s_and_saveexec_b64 s[0:1], vcc
	s_cbranch_execz .LBB0_9
; %bb.8:
	v_mul_f64 v[48:49], v[46:47], v[64:65]
	v_mul_f64 v[46:47], v[46:47], v[66:67]
	v_fma_f64 v[48:49], v[44:45], v[66:67], -v[48:49]
	v_fmac_f64_e32 v[46:47], v[44:45], v[64:65]
	v_add_f64 v[48:49], v[114:115], -v[48:49]
	v_add_f64 v[46:47], v[112:113], -v[46:47]
	v_and_b32_e32 v44, 0xff, v157
	v_fma_f64 v[52:53], v[114:115], 2.0, -v[48:49]
	v_fma_f64 v[50:51], v[112:113], 2.0, -v[46:47]
	v_lshl_add_u32 v44, v44, 4, v160
	ds_write_b128 v44, v[50:53] offset:3520
	ds_write_b128 v44, v[46:49] offset:3696
.LBB0_9:
	s_or_b64 exec, exec, s[0:1]
	s_waitcnt lgkmcnt(0)
	s_barrier
	ds_read_b128 v[48:51], v159
	ds_read_b128 v[44:47], v159 offset:352
	ds_read_b128 v[58:61], v159 offset:704
	;; [unrolled: 1-line block ×10, first 2 shown]
	s_waitcnt lgkmcnt(9)
	v_mul_f64 v[136:137], v[86:87], v[46:47]
	v_fmac_f64_e32 v[136:137], v[84:85], v[44:45]
	v_mul_f64 v[44:45], v[86:87], v[44:45]
	v_fma_f64 v[84:85], v[84:85], v[46:47], -v[44:45]
	s_waitcnt lgkmcnt(8)
	v_mul_f64 v[86:87], v[82:83], v[60:61]
	v_mul_f64 v[44:45], v[82:83], v[58:59]
	v_fmac_f64_e32 v[86:87], v[80:81], v[58:59]
	v_fma_f64 v[80:81], v[80:81], v[60:61], -v[44:45]
	s_waitcnt lgkmcnt(7)
	v_mul_f64 v[82:83], v[78:79], v[64:65]
	v_mul_f64 v[44:45], v[78:79], v[62:63]
	v_fmac_f64_e32 v[82:83], v[76:77], v[62:63]
	;; [unrolled: 5-line block ×3, first 2 shown]
	v_fma_f64 v[68:69], v[72:73], v[70:71], -v[44:45]
	s_waitcnt lgkmcnt(5)
	v_mul_f64 v[44:45], v[102:103], v[112:113]
	v_fma_f64 v[60:61], v[100:101], v[114:115], -v[44:45]
	s_waitcnt lgkmcnt(4)
	v_mul_f64 v[44:45], v[98:99], v[116:117]
	;; [unrolled: 3-line block ×5, first 2 shown]
	v_mul_f64 v[74:75], v[90:91], v[126:127]
	v_fma_f64 v[90:91], v[108:109], v[130:131], -v[44:45]
	s_waitcnt lgkmcnt(0)
	v_mul_f64 v[44:45], v[106:107], v[132:133]
	v_mul_f64 v[70:71], v[94:95], v[122:123]
	v_fma_f64 v[94:95], v[104:105], v[134:135], -v[44:45]
	v_add_f64 v[44:45], v[48:49], v[136:137]
	v_add_f64 v[46:47], v[50:51], v[84:85]
	;; [unrolled: 1-line block ×4, first 2 shown]
	v_mul_f64 v[58:59], v[102:103], v[114:115]
	v_add_f64 v[44:45], v[44:45], v[82:83]
	v_add_f64 v[46:47], v[46:47], v[76:77]
	v_fmac_f64_e32 v[58:59], v[100:101], v[112:113]
	v_mul_f64 v[62:63], v[98:99], v[118:119]
	v_add_f64 v[44:45], v[44:45], v[66:67]
	v_add_f64 v[46:47], v[46:47], v[68:69]
	v_fmac_f64_e32 v[62:63], v[96:97], v[116:117]
	v_add_f64 v[44:45], v[44:45], v[58:59]
	v_add_f64 v[46:47], v[46:47], v[60:61]
	v_fmac_f64_e32 v[70:71], v[92:93], v[120:121]
	v_add_f64 v[44:45], v[44:45], v[62:63]
	v_add_f64 v[46:47], v[46:47], v[64:65]
	v_mad_u64_u32 v[54:55], s[0:1], s6, v158, 0
	v_fmac_f64_e32 v[74:75], v[88:89], v[124:125]
	v_mul_f64 v[88:89], v[110:111], v[130:131]
	v_add_f64 v[44:45], v[44:45], v[70:71]
	v_add_f64 v[46:47], v[46:47], v[72:73]
	v_mov_b32_e32 v52, s2
	v_mov_b32_e32 v53, s3
	v_fmac_f64_e32 v[88:89], v[108:109], v[128:129]
	v_mul_f64 v[92:93], v[106:107], v[134:135]
	v_add_f64 v[44:45], v[44:45], v[74:75]
	v_add_f64 v[46:47], v[46:47], v[78:79]
	s_mov_b32 s14, 0xf8bb580b
	s_mov_b32 s16, 0x8764f0ba
	;; [unrolled: 1-line block ×10, first 2 shown]
	v_fmac_f64_e32 v[92:93], v[104:105], v[132:133]
	v_add_f64 v[44:45], v[44:45], v[88:89]
	v_add_f64 v[46:47], v[46:47], v[90:91]
	;; [unrolled: 1-line block ×3, first 2 shown]
	v_add_f64 v[84:85], v[84:85], -v[94:95]
	s_mov_b32 s15, 0xbfe14ced
	s_mov_b32 s17, 0x3feaeb8c
	;; [unrolled: 1-line block ×10, first 2 shown]
	v_add_f64 v[44:45], v[44:45], v[92:93]
	v_add_f64 v[46:47], v[46:47], v[94:95]
	v_add_f64 v[96:97], v[136:137], v[92:93]
	v_add_f64 v[92:93], v[136:137], -v[92:93]
	v_mul_f64 v[94:95], v[84:85], s[14:15]
	v_mul_f64 v[102:103], v[98:99], s[16:17]
	s_mov_b32 s19, 0x3fe14ced
	s_mov_b32 s18, s14
	v_mul_f64 v[106:107], v[84:85], s[2:3]
	v_mul_f64 v[110:111], v[98:99], s[8:9]
	s_mov_b32 s11, 0x3fed1bb4
	s_mov_b32 s10, s2
	;; [unrolled: 4-line block ×5, first 2 shown]
	v_fma_f64 v[100:101], s[16:17], v[96:97], v[94:95]
	v_fma_f64 v[104:105], s[18:19], v[92:93], v[102:103]
	v_fma_f64 v[94:95], v[96:97], s[16:17], -v[94:95]
	v_fmac_f64_e32 v[102:103], s[14:15], v[92:93]
	v_fma_f64 v[108:109], s[8:9], v[96:97], v[106:107]
	v_fma_f64 v[112:113], s[10:11], v[92:93], v[110:111]
	v_fma_f64 v[106:107], v[96:97], s[8:9], -v[106:107]
	v_fmac_f64_e32 v[110:111], s[2:3], v[92:93]
	;; [unrolled: 4-line block ×5, first 2 shown]
	v_add_f64 v[92:93], v[80:81], v[90:91]
	v_add_f64 v[80:81], v[80:81], -v[90:91]
	v_add_f64 v[100:101], v[48:49], v[100:101]
	v_add_f64 v[94:95], v[48:49], v[94:95]
	;; [unrolled: 1-line block ×11, first 2 shown]
	v_add_f64 v[86:87], v[86:87], -v[88:89]
	v_mul_f64 v[88:89], v[80:81], s[2:3]
	v_mul_f64 v[96:97], v[92:93], s[8:9]
	v_add_f64 v[104:105], v[50:51], v[104:105]
	v_add_f64 v[102:103], v[50:51], v[102:103]
	;; [unrolled: 1-line block ×10, first 2 shown]
	v_fma_f64 v[90:91], s[8:9], v[84:85], v[88:89]
	v_fma_f64 v[98:99], s[10:11], v[86:87], v[96:97]
	v_fma_f64 v[88:89], v[84:85], s[8:9], -v[88:89]
	v_fmac_f64_e32 v[96:97], s[2:3], v[86:87]
	v_add_f64 v[88:89], v[88:89], v[94:95]
	v_add_f64 v[94:95], v[96:97], v[102:103]
	v_mul_f64 v[96:97], v[80:81], s[22:23]
	v_add_f64 v[90:91], v[90:91], v[100:101]
	v_fma_f64 v[100:101], s[24:25], v[84:85], v[96:97]
	v_fma_f64 v[96:97], v[84:85], s[24:25], -v[96:97]
	v_add_f64 v[96:97], v[96:97], v[106:107]
	v_mul_f64 v[106:107], v[80:81], s[34:35]
	v_add_f64 v[100:101], v[100:101], v[108:109]
	v_fma_f64 v[108:109], s[30:31], v[84:85], v[106:107]
	v_fma_f64 v[106:107], v[84:85], s[30:31], -v[106:107]
	v_mul_f64 v[102:103], v[92:93], s[24:25]
	v_add_f64 v[106:107], v[106:107], v[114:115]
	v_mul_f64 v[114:115], v[80:81], s[20:21]
	v_add_f64 v[98:99], v[98:99], v[104:105]
	v_fma_f64 v[104:105], s[26:27], v[86:87], v[102:103]
	v_fmac_f64_e32 v[102:103], s[22:23], v[86:87]
	v_add_f64 v[108:109], v[108:109], v[116:117]
	v_fma_f64 v[116:117], s[12:13], v[84:85], v[114:115]
	v_fma_f64 v[114:115], v[84:85], s[12:13], -v[114:115]
	v_mul_f64 v[80:81], v[80:81], s[18:19]
	v_add_f64 v[102:103], v[102:103], v[110:111]
	v_mul_f64 v[110:111], v[92:93], s[30:31]
	v_add_f64 v[114:115], v[114:115], v[122:123]
	v_fma_f64 v[122:123], s[16:17], v[84:85], v[80:81]
	v_fma_f64 v[80:81], v[84:85], s[16:17], -v[80:81]
	v_add_f64 v[84:85], v[76:77], v[78:79]
	v_add_f64 v[76:77], v[76:77], -v[78:79]
	v_add_f64 v[104:105], v[104:105], v[112:113]
	v_fma_f64 v[112:113], s[28:29], v[86:87], v[110:111]
	v_fmac_f64_e32 v[110:111], s[34:35], v[86:87]
	v_add_f64 v[48:49], v[80:81], v[48:49]
	v_add_f64 v[80:81], v[82:83], v[74:75]
	v_mul_f64 v[78:79], v[76:77], s[0:1]
	v_add_f64 v[110:111], v[110:111], v[118:119]
	v_mul_f64 v[118:119], v[92:93], s[12:13]
	v_mul_f64 v[92:93], v[92:93], s[16:17]
	v_add_f64 v[74:75], v[82:83], -v[74:75]
	v_fma_f64 v[82:83], s[12:13], v[80:81], v[78:79]
	v_fma_f64 v[78:79], v[80:81], s[12:13], -v[78:79]
	v_add_f64 v[116:117], v[116:117], v[124:125]
	v_fma_f64 v[124:125], s[14:15], v[86:87], v[92:93]
	v_fmac_f64_e32 v[92:93], s[18:19], v[86:87]
	v_add_f64 v[78:79], v[78:79], v[88:89]
	v_mul_f64 v[88:89], v[76:77], s[34:35]
	v_add_f64 v[112:113], v[112:113], v[120:121]
	v_fma_f64 v[120:121], s[0:1], v[86:87], v[118:119]
	v_fmac_f64_e32 v[118:119], s[20:21], v[86:87]
	v_add_f64 v[50:51], v[92:93], v[50:51]
	v_mul_f64 v[86:87], v[84:85], s[12:13]
	v_fma_f64 v[92:93], s[30:31], v[80:81], v[88:89]
	v_fma_f64 v[88:89], v[80:81], s[30:31], -v[88:89]
	v_add_f64 v[82:83], v[82:83], v[90:91]
	v_fma_f64 v[90:91], s[20:21], v[74:75], v[86:87]
	v_fmac_f64_e32 v[86:87], s[0:1], v[74:75]
	v_add_f64 v[88:89], v[88:89], v[96:97]
	v_mul_f64 v[96:97], v[76:77], s[10:11]
	v_add_f64 v[86:87], v[86:87], v[94:95]
	v_add_f64 v[92:93], v[92:93], v[100:101]
	v_mul_f64 v[94:95], v[84:85], s[30:31]
	v_fma_f64 v[100:101], s[8:9], v[80:81], v[96:97]
	v_fma_f64 v[96:97], v[80:81], s[8:9], -v[96:97]
	v_add_f64 v[90:91], v[90:91], v[98:99]
	v_fma_f64 v[98:99], s[28:29], v[74:75], v[94:95]
	v_fmac_f64_e32 v[94:95], s[34:35], v[74:75]
	v_add_f64 v[96:97], v[96:97], v[106:107]
	v_mul_f64 v[106:107], v[76:77], s[14:15]
	v_add_f64 v[94:95], v[94:95], v[102:103]
	v_add_f64 v[100:101], v[100:101], v[108:109]
	v_mul_f64 v[102:103], v[84:85], s[8:9]
	v_fma_f64 v[108:109], s[16:17], v[80:81], v[106:107]
	v_fma_f64 v[106:107], v[80:81], s[16:17], -v[106:107]
	v_mul_f64 v[76:77], v[76:77], s[22:23]
	v_add_f64 v[98:99], v[98:99], v[104:105]
	v_fma_f64 v[104:105], s[2:3], v[74:75], v[102:103]
	v_fmac_f64_e32 v[102:103], s[10:11], v[74:75]
	v_add_f64 v[106:107], v[106:107], v[114:115]
	v_fma_f64 v[114:115], s[24:25], v[80:81], v[76:77]
	v_fma_f64 v[76:77], v[80:81], s[24:25], -v[76:77]
	v_add_f64 v[102:103], v[102:103], v[110:111]
	v_mul_f64 v[110:111], v[84:85], s[16:17]
	v_mul_f64 v[84:85], v[84:85], s[24:25]
	v_add_f64 v[48:49], v[76:77], v[48:49]
	v_add_f64 v[76:77], v[68:69], v[72:73]
	v_add_f64 v[68:69], v[68:69], -v[72:73]
	v_add_f64 v[104:105], v[104:105], v[112:113]
	v_add_f64 v[108:109], v[108:109], v[116:117]
	v_fma_f64 v[112:113], s[18:19], v[74:75], v[110:111]
	v_fmac_f64_e32 v[110:111], s[14:15], v[74:75]
	v_fma_f64 v[116:117], s[26:27], v[74:75], v[84:85]
	v_fmac_f64_e32 v[84:85], s[22:23], v[74:75]
	v_add_f64 v[74:75], v[66:67], v[70:71]
	v_add_f64 v[66:67], v[66:67], -v[70:71]
	v_mul_f64 v[70:71], v[68:69], s[22:23]
	v_fma_f64 v[72:73], s[24:25], v[74:75], v[70:71]
	v_mul_f64 v[80:81], v[76:77], s[24:25]
	v_add_f64 v[72:73], v[72:73], v[82:83]
	v_fma_f64 v[82:83], s[26:27], v[66:67], v[80:81]
	v_fma_f64 v[70:71], v[74:75], s[24:25], -v[70:71]
	v_fmac_f64_e32 v[80:81], s[22:23], v[66:67]
	v_add_f64 v[70:71], v[70:71], v[78:79]
	v_add_f64 v[78:79], v[80:81], v[86:87]
	v_mul_f64 v[80:81], v[68:69], s[20:21]
	v_add_f64 v[50:51], v[84:85], v[50:51]
	v_fma_f64 v[84:85], s[12:13], v[74:75], v[80:81]
	v_mul_f64 v[86:87], v[76:77], s[12:13]
	v_fma_f64 v[80:81], v[74:75], s[12:13], -v[80:81]
	v_add_f64 v[82:83], v[82:83], v[90:91]
	v_fma_f64 v[90:91], s[0:1], v[66:67], v[86:87]
	v_add_f64 v[80:81], v[80:81], v[88:89]
	v_fmac_f64_e32 v[86:87], s[20:21], v[66:67]
	v_mul_f64 v[88:89], v[68:69], s[14:15]
	v_add_f64 v[84:85], v[84:85], v[92:93]
	v_add_f64 v[86:87], v[86:87], v[94:95]
	v_fma_f64 v[92:93], s[16:17], v[74:75], v[88:89]
	v_mul_f64 v[94:95], v[76:77], s[16:17]
	v_fma_f64 v[88:89], v[74:75], s[16:17], -v[88:89]
	v_add_f64 v[90:91], v[90:91], v[98:99]
	v_fma_f64 v[98:99], s[18:19], v[66:67], v[94:95]
	v_add_f64 v[88:89], v[88:89], v[96:97]
	v_fmac_f64_e32 v[94:95], s[14:15], v[66:67]
	v_mul_f64 v[96:97], v[68:69], s[28:29]
	v_add_f64 v[120:121], v[120:121], v[128:129]
	v_add_f64 v[122:123], v[122:123], v[130:131]
	;; [unrolled: 1-line block ×5, first 2 shown]
	v_fma_f64 v[100:101], s[30:31], v[74:75], v[96:97]
	v_mul_f64 v[102:103], v[76:77], s[30:31]
	v_fma_f64 v[96:97], v[74:75], s[30:31], -v[96:97]
	v_mul_f64 v[68:69], v[68:69], s[10:11]
	v_mul_f64 v[76:77], v[76:77], s[8:9]
	v_add_f64 v[118:119], v[118:119], v[126:127]
	v_add_f64 v[112:113], v[112:113], v[120:121]
	v_add_f64 v[114:115], v[114:115], v[122:123]
	v_add_f64 v[116:117], v[116:117], v[124:125]
	v_add_f64 v[100:101], v[100:101], v[108:109]
	v_add_f64 v[96:97], v[96:97], v[106:107]
	v_fma_f64 v[106:107], s[8:9], v[74:75], v[68:69]
	v_fma_f64 v[108:109], s[2:3], v[66:67], v[76:77]
	v_add_f64 v[120:121], v[60:61], -v[64:65]
	v_add_f64 v[110:111], v[110:111], v[118:119]
	v_add_f64 v[98:99], v[98:99], v[104:105]
	v_fma_f64 v[104:105], s[34:35], v[66:67], v[102:103]
	v_fmac_f64_e32 v[102:103], s[28:29], v[66:67]
	v_add_f64 v[106:107], v[106:107], v[114:115]
	v_add_f64 v[108:109], v[108:109], v[116:117]
	v_fma_f64 v[68:69], v[74:75], s[8:9], -v[68:69]
	v_add_f64 v[114:115], v[58:59], v[62:63]
	v_add_f64 v[116:117], v[60:61], v[64:65]
	v_add_f64 v[118:119], v[58:59], -v[62:63]
	v_mul_f64 v[58:59], v[120:121], s[28:29]
	v_add_f64 v[102:103], v[102:103], v[110:111]
	v_add_f64 v[110:111], v[68:69], v[48:49]
	v_fmac_f64_e32 v[76:77], s[10:11], v[66:67]
	v_fma_f64 v[48:49], s[30:31], v[114:115], v[58:59]
	v_mul_f64 v[60:61], v[116:117], s[30:31]
	v_fma_f64 v[58:59], v[114:115], s[30:31], -v[58:59]
	v_mul_f64 v[66:67], v[120:121], s[18:19]
	v_mul_f64 v[68:69], v[116:117], s[16:17]
	;; [unrolled: 1-line block ×3, first 2 shown]
	v_add_f64 v[104:105], v[104:105], v[112:113]
	v_add_f64 v[112:113], v[76:77], v[50:51]
	v_fma_f64 v[50:51], s[34:35], v[118:119], v[60:61]
	v_add_f64 v[58:59], v[58:59], v[70:71]
	v_fma_f64 v[62:63], s[16:17], v[114:115], v[66:67]
	v_fma_f64 v[64:65], s[14:15], v[118:119], v[68:69]
	;; [unrolled: 1-line block ×3, first 2 shown]
	v_add_f64 v[50:51], v[50:51], v[82:83]
	v_fmac_f64_e32 v[60:61], s[28:29], v[118:119]
	v_add_f64 v[62:63], v[62:63], v[84:85]
	v_add_f64 v[64:65], v[64:65], v[90:91]
	v_fma_f64 v[66:67], v[114:115], s[16:17], -v[66:67]
	v_fmac_f64_e32 v[68:69], s[18:19], v[118:119]
	v_add_f64 v[70:71], v[70:71], v[92:93]
	v_mul_f64 v[76:77], v[116:117], s[24:25]
	v_fma_f64 v[74:75], v[114:115], s[24:25], -v[74:75]
	v_mul_f64 v[82:83], v[120:121], s[10:11]
	v_mul_f64 v[84:85], v[116:117], s[8:9]
	;; [unrolled: 1-line block ×4, first 2 shown]
	v_add_f64 v[48:49], v[48:49], v[72:73]
	v_add_f64 v[60:61], v[60:61], v[78:79]
	;; [unrolled: 1-line block ×4, first 2 shown]
	v_fma_f64 v[72:73], s[26:27], v[118:119], v[76:77]
	v_add_f64 v[74:75], v[74:75], v[88:89]
	v_fmac_f64_e32 v[76:77], s[22:23], v[118:119]
	v_fma_f64 v[78:79], s[8:9], v[114:115], v[82:83]
	v_fma_f64 v[80:81], s[2:3], v[118:119], v[84:85]
	v_fma_f64 v[82:83], v[114:115], s[8:9], -v[82:83]
	v_fmac_f64_e32 v[84:85], s[10:11], v[118:119]
	v_fma_f64 v[86:87], s[12:13], v[114:115], v[90:91]
	v_fma_f64 v[88:89], s[20:21], v[118:119], v[92:93]
	v_fma_f64 v[90:91], v[114:115], s[12:13], -v[90:91]
	v_fmac_f64_e32 v[92:93], s[0:1], v[118:119]
	v_add_f64 v[72:73], v[72:73], v[98:99]
	v_add_f64 v[76:77], v[76:77], v[94:95]
	;; [unrolled: 1-line block ×10, first 2 shown]
	ds_write_b128 v159, v[44:47]
	ds_write_b128 v159, v[48:51] offset:352
	ds_write_b128 v159, v[62:65] offset:704
	;; [unrolled: 1-line block ×10, first 2 shown]
	s_waitcnt lgkmcnt(0)
	s_barrier
	ds_read_b128 v[44:47], v159
	v_mov_b32_e32 v56, v55
	v_mad_u64_u32 v[48:49], s[0:1], s7, v158, v[56:57]
	v_mov_b32_e32 v55, v48
	ds_read_b128 v[48:51], v159 offset:352
	s_waitcnt lgkmcnt(1)
	v_mul_f64 v[56:57], v[42:43], v[46:47]
	s_mov_b32 s0, 0x6be69c90
	v_mul_f64 v[42:43], v[42:43], v[44:45]
	v_fmac_f64_e32 v[56:57], v[40:41], v[44:45]
	s_mov_b32 s1, 0x3f70ecf5
	v_fma_f64 v[40:41], v[40:41], v[46:47], -v[42:43]
	v_mul_f64 v[58:59], v[40:41], s[0:1]
	v_mad_u64_u32 v[40:41], s[2:3], s4, v156, 0
	v_mov_b32_e32 v42, v41
	v_mad_u64_u32 v[42:43], s[2:3], s5, v156, v[42:43]
	v_mov_b32_e32 v41, v42
	v_lshl_add_u64 v[42:43], v[54:55], 4, v[52:53]
	v_lshl_add_u64 v[44:45], v[40:41], 4, v[42:43]
	s_waitcnt lgkmcnt(0)
	v_mul_f64 v[40:41], v[34:35], v[50:51]
	v_mul_f64 v[34:35], v[34:35], v[48:49]
	v_fmac_f64_e32 v[40:41], v[32:33], v[48:49]
	v_fma_f64 v[32:33], v[32:33], v[50:51], -v[34:35]
	v_mov_b32_e32 v50, 0x160
	v_mad_u64_u32 v[48:49], s[2:3], s4, v50, v[44:45]
	v_mul_f64 v[42:43], v[32:33], s[0:1]
	ds_read_b128 v[32:35], v159 offset:704
	s_mul_i32 s2, s5, 0x160
	v_mul_f64 v[56:57], v[56:57], s[0:1]
	v_mul_f64 v[40:41], v[40:41], s[0:1]
	v_add_u32_e32 v49, s2, v49
	global_store_dwordx4 v[44:45], v[56:59], off
	global_store_dwordx4 v[48:49], v[40:43], off
	ds_read_b128 v[40:43], v159 offset:1056
	s_waitcnt lgkmcnt(1)
	v_mul_f64 v[44:45], v[10:11], v[34:35]
	v_mul_f64 v[10:11], v[10:11], v[32:33]
	v_fmac_f64_e32 v[44:45], v[8:9], v[32:33]
	v_fma_f64 v[8:9], v[8:9], v[34:35], -v[10:11]
	v_mad_u64_u32 v[48:49], s[6:7], s4, v50, v[48:49]
	v_mul_f64 v[46:47], v[8:9], s[0:1]
	v_add_u32_e32 v49, s2, v49
	s_waitcnt lgkmcnt(0)
	v_mul_f64 v[8:9], v[38:39], v[42:43]
	v_mul_f64 v[10:11], v[38:39], v[40:41]
	v_fmac_f64_e32 v[8:9], v[36:37], v[40:41]
	v_fma_f64 v[10:11], v[36:37], v[42:43], -v[10:11]
	ds_read_b128 v[32:35], v159 offset:1408
	v_mad_u64_u32 v[40:41], s[6:7], s4, v50, v[48:49]
	v_mul_f64 v[44:45], v[44:45], s[0:1]
	v_mul_f64 v[8:9], v[8:9], s[0:1]
	;; [unrolled: 1-line block ×3, first 2 shown]
	v_add_u32_e32 v41, s2, v41
	global_store_dwordx4 v[48:49], v[44:47], off
	global_store_dwordx4 v[40:41], v[8:11], off
	ds_read_b128 v[8:11], v159 offset:1760
	s_waitcnt lgkmcnt(1)
	v_mul_f64 v[36:37], v[14:15], v[34:35]
	v_mul_f64 v[14:15], v[14:15], v[32:33]
	v_fmac_f64_e32 v[36:37], v[12:13], v[32:33]
	v_fma_f64 v[12:13], v[12:13], v[34:35], -v[14:15]
	v_mul_f64 v[38:39], v[12:13], s[0:1]
	s_waitcnt lgkmcnt(0)
	v_mul_f64 v[12:13], v[30:31], v[10:11]
	v_mad_u64_u32 v[32:33], s[6:7], s4, v50, v[40:41]
	v_fmac_f64_e32 v[12:13], v[28:29], v[8:9]
	v_mul_f64 v[8:9], v[30:31], v[8:9]
	v_mul_f64 v[36:37], v[36:37], s[0:1]
	v_add_u32_e32 v33, s2, v33
	v_fma_f64 v[8:9], v[28:29], v[10:11], -v[8:9]
	global_store_dwordx4 v[32:33], v[36:39], off
	v_mul_f64 v[14:15], v[8:9], s[0:1]
	ds_read_b128 v[8:11], v159 offset:2112
	v_mad_u64_u32 v[32:33], s[6:7], s4, v50, v[32:33]
	v_mul_f64 v[12:13], v[12:13], s[0:1]
	v_add_u32_e32 v33, s2, v33
	global_store_dwordx4 v[32:33], v[12:15], off
	ds_read_b128 v[12:15], v159 offset:2464
	s_waitcnt lgkmcnt(1)
	v_mul_f64 v[28:29], v[6:7], v[10:11]
	v_mul_f64 v[6:7], v[6:7], v[8:9]
	v_fmac_f64_e32 v[28:29], v[4:5], v[8:9]
	v_fma_f64 v[4:5], v[4:5], v[10:11], -v[6:7]
	v_mad_u64_u32 v[32:33], s[6:7], s4, v50, v[32:33]
	v_mul_f64 v[30:31], v[4:5], s[0:1]
	v_add_u32_e32 v33, s2, v33
	s_waitcnt lgkmcnt(0)
	v_mul_f64 v[4:5], v[22:23], v[14:15]
	v_mul_f64 v[6:7], v[22:23], v[12:13]
	v_fmac_f64_e32 v[4:5], v[20:21], v[12:13]
	v_fma_f64 v[6:7], v[20:21], v[14:15], -v[6:7]
	ds_read_b128 v[8:11], v159 offset:2816
	v_mad_u64_u32 v[20:21], s[6:7], s4, v50, v[32:33]
	v_mul_f64 v[28:29], v[28:29], s[0:1]
	v_mul_f64 v[4:5], v[4:5], s[0:1]
	;; [unrolled: 1-line block ×3, first 2 shown]
	v_add_u32_e32 v21, s2, v21
	global_store_dwordx4 v[32:33], v[28:31], off
	global_store_dwordx4 v[20:21], v[4:7], off
	ds_read_b128 v[4:7], v159 offset:3168
	s_waitcnt lgkmcnt(1)
	v_mul_f64 v[12:13], v[2:3], v[10:11]
	v_mul_f64 v[2:3], v[2:3], v[8:9]
	v_fmac_f64_e32 v[12:13], v[0:1], v[8:9]
	v_fma_f64 v[0:1], v[0:1], v[10:11], -v[2:3]
	v_mul_f64 v[14:15], v[0:1], s[0:1]
	s_waitcnt lgkmcnt(0)
	v_mul_f64 v[0:1], v[18:19], v[6:7]
	v_mul_f64 v[2:3], v[18:19], v[4:5]
	v_fmac_f64_e32 v[0:1], v[16:17], v[4:5]
	v_fma_f64 v[2:3], v[16:17], v[6:7], -v[2:3]
	ds_read_b128 v[4:7], v159 offset:3520
	v_mad_u64_u32 v[8:9], s[6:7], s4, v50, v[20:21]
	v_mul_f64 v[12:13], v[12:13], s[0:1]
	v_add_u32_e32 v9, s2, v9
	global_store_dwordx4 v[8:9], v[12:15], off
	v_mad_u64_u32 v[8:9], s[6:7], s4, v50, v[8:9]
	v_mul_f64 v[0:1], v[0:1], s[0:1]
	v_mul_f64 v[2:3], v[2:3], s[0:1]
	v_add_u32_e32 v9, s2, v9
	global_store_dwordx4 v[8:9], v[0:3], off
	s_waitcnt lgkmcnt(0)
	s_nop 0
	v_mul_f64 v[0:1], v[26:27], v[6:7]
	v_mul_f64 v[2:3], v[26:27], v[4:5]
	v_fmac_f64_e32 v[0:1], v[24:25], v[4:5]
	v_fma_f64 v[2:3], v[24:25], v[6:7], -v[2:3]
	v_mul_f64 v[0:1], v[0:1], s[0:1]
	v_mul_f64 v[2:3], v[2:3], s[0:1]
	v_mad_u64_u32 v[4:5], s[0:1], s4, v50, v[8:9]
	v_add_u32_e32 v5, s2, v5
	global_store_dwordx4 v[4:5], v[0:3], off
.LBB0_10:
	s_endpgm
	.section	.rodata,"a",@progbits
	.p2align	6, 0x0
	.amdhsa_kernel bluestein_single_fwd_len242_dim1_dp_op_CI_CI
		.amdhsa_group_segment_fixed_size 19360
		.amdhsa_private_segment_fixed_size 0
		.amdhsa_kernarg_size 104
		.amdhsa_user_sgpr_count 2
		.amdhsa_user_sgpr_dispatch_ptr 0
		.amdhsa_user_sgpr_queue_ptr 0
		.amdhsa_user_sgpr_kernarg_segment_ptr 1
		.amdhsa_user_sgpr_dispatch_id 0
		.amdhsa_user_sgpr_kernarg_preload_length 0
		.amdhsa_user_sgpr_kernarg_preload_offset 0
		.amdhsa_user_sgpr_private_segment_size 0
		.amdhsa_uses_dynamic_stack 0
		.amdhsa_enable_private_segment 0
		.amdhsa_system_sgpr_workgroup_id_x 1
		.amdhsa_system_sgpr_workgroup_id_y 0
		.amdhsa_system_sgpr_workgroup_id_z 0
		.amdhsa_system_sgpr_workgroup_info 0
		.amdhsa_system_vgpr_workitem_id 0
		.amdhsa_next_free_vgpr 214
		.amdhsa_next_free_sgpr 38
		.amdhsa_accum_offset 216
		.amdhsa_reserve_vcc 1
		.amdhsa_float_round_mode_32 0
		.amdhsa_float_round_mode_16_64 0
		.amdhsa_float_denorm_mode_32 3
		.amdhsa_float_denorm_mode_16_64 3
		.amdhsa_dx10_clamp 1
		.amdhsa_ieee_mode 1
		.amdhsa_fp16_overflow 0
		.amdhsa_tg_split 0
		.amdhsa_exception_fp_ieee_invalid_op 0
		.amdhsa_exception_fp_denorm_src 0
		.amdhsa_exception_fp_ieee_div_zero 0
		.amdhsa_exception_fp_ieee_overflow 0
		.amdhsa_exception_fp_ieee_underflow 0
		.amdhsa_exception_fp_ieee_inexact 0
		.amdhsa_exception_int_div_zero 0
	.end_amdhsa_kernel
	.text
.Lfunc_end0:
	.size	bluestein_single_fwd_len242_dim1_dp_op_CI_CI, .Lfunc_end0-bluestein_single_fwd_len242_dim1_dp_op_CI_CI
                                        ; -- End function
	.section	.AMDGPU.csdata,"",@progbits
; Kernel info:
; codeLenInByte = 15392
; NumSgprs: 44
; NumVgprs: 214
; NumAgprs: 0
; TotalNumVgprs: 214
; ScratchSize: 0
; MemoryBound: 0
; FloatMode: 240
; IeeeMode: 1
; LDSByteSize: 19360 bytes/workgroup (compile time only)
; SGPRBlocks: 5
; VGPRBlocks: 26
; NumSGPRsForWavesPerEU: 44
; NumVGPRsForWavesPerEU: 214
; AccumOffset: 216
; Occupancy: 2
; WaveLimiterHint : 1
; COMPUTE_PGM_RSRC2:SCRATCH_EN: 0
; COMPUTE_PGM_RSRC2:USER_SGPR: 2
; COMPUTE_PGM_RSRC2:TRAP_HANDLER: 0
; COMPUTE_PGM_RSRC2:TGID_X_EN: 1
; COMPUTE_PGM_RSRC2:TGID_Y_EN: 0
; COMPUTE_PGM_RSRC2:TGID_Z_EN: 0
; COMPUTE_PGM_RSRC2:TIDIG_COMP_CNT: 0
; COMPUTE_PGM_RSRC3_GFX90A:ACCUM_OFFSET: 53
; COMPUTE_PGM_RSRC3_GFX90A:TG_SPLIT: 0
	.text
	.p2alignl 6, 3212836864
	.fill 256, 4, 3212836864
	.type	__hip_cuid_20716b638124d444,@object ; @__hip_cuid_20716b638124d444
	.section	.bss,"aw",@nobits
	.globl	__hip_cuid_20716b638124d444
__hip_cuid_20716b638124d444:
	.byte	0                               ; 0x0
	.size	__hip_cuid_20716b638124d444, 1

	.ident	"AMD clang version 19.0.0git (https://github.com/RadeonOpenCompute/llvm-project roc-6.4.0 25133 c7fe45cf4b819c5991fe208aaa96edf142730f1d)"
	.section	".note.GNU-stack","",@progbits
	.addrsig
	.addrsig_sym __hip_cuid_20716b638124d444
	.amdgpu_metadata
---
amdhsa.kernels:
  - .agpr_count:     0
    .args:
      - .actual_access:  read_only
        .address_space:  global
        .offset:         0
        .size:           8
        .value_kind:     global_buffer
      - .actual_access:  read_only
        .address_space:  global
        .offset:         8
        .size:           8
        .value_kind:     global_buffer
      - .actual_access:  read_only
        .address_space:  global
        .offset:         16
        .size:           8
        .value_kind:     global_buffer
      - .actual_access:  read_only
        .address_space:  global
        .offset:         24
        .size:           8
        .value_kind:     global_buffer
      - .actual_access:  read_only
        .address_space:  global
        .offset:         32
        .size:           8
        .value_kind:     global_buffer
      - .offset:         40
        .size:           8
        .value_kind:     by_value
      - .address_space:  global
        .offset:         48
        .size:           8
        .value_kind:     global_buffer
      - .address_space:  global
        .offset:         56
        .size:           8
        .value_kind:     global_buffer
      - .address_space:  global
        .offset:         64
        .size:           8
        .value_kind:     global_buffer
      - .address_space:  global
        .offset:         72
        .size:           8
        .value_kind:     global_buffer
      - .offset:         80
        .size:           4
        .value_kind:     by_value
      - .address_space:  global
        .offset:         88
        .size:           8
        .value_kind:     global_buffer
      - .address_space:  global
        .offset:         96
        .size:           8
        .value_kind:     global_buffer
    .group_segment_fixed_size: 19360
    .kernarg_segment_align: 8
    .kernarg_segment_size: 104
    .language:       OpenCL C
    .language_version:
      - 2
      - 0
    .max_flat_workgroup_size: 110
    .name:           bluestein_single_fwd_len242_dim1_dp_op_CI_CI
    .private_segment_fixed_size: 0
    .sgpr_count:     44
    .sgpr_spill_count: 0
    .symbol:         bluestein_single_fwd_len242_dim1_dp_op_CI_CI.kd
    .uniform_work_group_size: 1
    .uses_dynamic_stack: false
    .vgpr_count:     214
    .vgpr_spill_count: 0
    .wavefront_size: 64
amdhsa.target:   amdgcn-amd-amdhsa--gfx950
amdhsa.version:
  - 1
  - 2
...

	.end_amdgpu_metadata
